;; amdgpu-corpus repo=ROCm/rocFFT kind=compiled arch=gfx950 opt=O3
	.text
	.amdgcn_target "amdgcn-amd-amdhsa--gfx950"
	.amdhsa_code_object_version 6
	.protected	bluestein_single_fwd_len385_dim1_dp_op_CI_CI ; -- Begin function bluestein_single_fwd_len385_dim1_dp_op_CI_CI
	.globl	bluestein_single_fwd_len385_dim1_dp_op_CI_CI
	.p2align	8
	.type	bluestein_single_fwd_len385_dim1_dp_op_CI_CI,@function
bluestein_single_fwd_len385_dim1_dp_op_CI_CI: ; @bluestein_single_fwd_len385_dim1_dp_op_CI_CI
; %bb.0:
	s_load_dwordx4 s[4:7], s[0:1], 0x28
	v_mul_u32_u24_e32 v1, 0x4a8, v0
	v_mov_b32_e32 v115, 0
	v_add_u32_sdwa v116, s2, v1 dst_sel:DWORD dst_unused:UNUSED_PAD src0_sel:DWORD src1_sel:WORD_1
	v_mov_b32_e32 v117, v115
	s_waitcnt lgkmcnt(0)
	v_cmp_gt_u64_e32 vcc, s[4:5], v[116:117]
	s_and_saveexec_b64 s[2:3], vcc
	s_cbranch_execz .LBB0_23
; %bb.1:
	s_load_dwordx2 s[12:13], s[0:1], 0x0
	s_load_dwordx2 s[14:15], s[0:1], 0x38
	v_mov_b32_e32 v2, 55
	v_mul_lo_u16_sdwa v1, v1, v2 dst_sel:DWORD dst_unused:UNUSED_PAD src0_sel:WORD_1 src1_sel:DWORD
	v_sub_u16_e32 v114, v0, v1
	v_cmp_gt_u16_e64 s[4:5], 35, v114
	v_lshlrev_b32_e32 v112, 4, v114
	s_and_saveexec_b64 s[2:3], s[4:5]
	s_cbranch_execz .LBB0_3
; %bb.2:
	s_load_dwordx2 s[8:9], s[0:1], 0x18
	v_mov_b32_e32 v0, s6
	v_mov_b32_e32 v1, s7
	;; [unrolled: 1-line block ×4, first 2 shown]
	s_waitcnt lgkmcnt(0)
	s_load_dwordx4 s[8:11], s[8:9], 0x0
	v_lshl_add_u64 v[60:61], s[12:13], 0, v[112:113]
	s_waitcnt lgkmcnt(0)
	v_mad_u64_u32 v[2:3], s[6:7], s10, v116, 0
	v_mad_u64_u32 v[4:5], s[6:7], s8, v114, 0
	v_mov_b32_e32 v6, v3
	v_mov_b32_e32 v8, v5
	v_mad_u64_u32 v[6:7], s[6:7], s11, v116, v[6:7]
	v_mov_b32_e32 v3, v6
	v_mad_u64_u32 v[6:7], s[6:7], s9, v114, v[8:9]
	v_mov_b32_e32 v5, v6
	v_lshl_add_u64 v[0:1], v[2:3], 4, v[0:1]
	v_lshl_add_u64 v[8:9], v[4:5], 4, v[0:1]
	v_mad_u64_u32 v[24:25], s[6:7], s8, v88, v[8:9]
	s_mul_i32 s6, s9, 0x230
	s_nop 0
	v_add_u32_e32 v25, s6, v25
	v_mad_u64_u32 v[26:27], s[10:11], s8, v88, v[24:25]
	global_load_dwordx4 v[0:3], v[8:9], off
	global_load_dwordx4 v[4:7], v112, s[12:13]
	v_add_u32_e32 v27, s6, v27
	v_mad_u64_u32 v[48:49], s[10:11], s8, v88, v[26:27]
	global_load_dwordx4 v[8:11], v112, s[12:13] offset:560
	global_load_dwordx4 v[12:15], v112, s[12:13] offset:1120
	global_load_dwordx4 v[20:23], v[24:25], off
	global_load_dwordx4 v[16:19], v[26:27], off
	v_add_u32_e32 v49, s6, v49
	global_load_dwordx4 v[24:27], v112, s[12:13] offset:1680
	global_load_dwordx4 v[28:31], v112, s[12:13] offset:2240
	;; [unrolled: 1-line block ×5, first 2 shown]
	global_load_dwordx4 v[44:47], v[48:49], off
	v_mad_u64_u32 v[52:53], s[10:11], s8, v88, v[48:49]
	v_add_u32_e32 v53, s6, v53
	global_load_dwordx4 v[48:51], v[52:53], off
	v_mad_u64_u32 v[56:57], s[10:11], s8, v88, v[52:53]
	v_add_u32_e32 v57, s6, v57
	;; [unrolled: 3-line block ×3, first 2 shown]
	s_movk_i32 s7, 0x1000
	global_load_dwordx4 v[56:59], v[62:63], off
	v_mad_u64_u32 v[64:65], s[10:11], s8, v88, v[62:63]
	v_add_co_u32_e32 v84, vcc, s7, v60
	v_add_u32_e32 v65, s6, v65
	s_nop 0
	v_addc_co_u32_e32 v85, vcc, 0, v61, vcc
	global_load_dwordx4 v[60:63], v[64:65], off
	v_mad_u64_u32 v[76:77], s[10:11], s8, v88, v[64:65]
	v_add_u32_e32 v77, s6, v77
	v_mad_u64_u32 v[86:87], s[10:11], s8, v88, v[76:77]
	global_load_dwordx4 v[64:67], v[76:77], off
	global_load_dwordx4 v[68:71], v[84:85], off offset:384
	global_load_dwordx4 v[72:75], v[84:85], off offset:944
	v_add_u32_e32 v87, s6, v87
	global_load_dwordx4 v[76:79], v[86:87], off
	global_load_dwordx4 v[80:83], v[84:85], off offset:1504
	v_mad_u64_u32 v[84:85], s[8:9], s8, v88, v[86:87]
	v_add_u32_e32 v85, s6, v85
	global_load_dwordx4 v[84:87], v[84:85], off
	s_waitcnt vmcnt(20)
	v_mul_f64 v[90:91], v[0:1], v[6:7]
	v_mul_f64 v[88:89], v[2:3], v[6:7]
	v_fma_f64 v[90:91], v[2:3], v[4:5], -v[90:91]
	v_fmac_f64_e32 v[88:89], v[0:1], v[4:5]
	s_waitcnt vmcnt(17)
	v_mul_f64 v[0:1], v[22:23], v[10:11]
	v_mul_f64 v[2:3], v[20:21], v[10:11]
	v_fmac_f64_e32 v[0:1], v[20:21], v[8:9]
	v_fma_f64 v[2:3], v[22:23], v[8:9], -v[2:3]
	ds_write_b128 v112, v[0:3] offset:560
	s_waitcnt vmcnt(10)
	v_mul_f64 v[0:1], v[46:47], v[26:27]
	v_mul_f64 v[2:3], v[44:45], v[26:27]
	v_fmac_f64_e32 v[0:1], v[44:45], v[24:25]
	v_fma_f64 v[2:3], v[46:47], v[24:25], -v[2:3]
	ds_write_b128 v112, v[0:3] offset:1680
	;; [unrolled: 6-line block ×7, first 2 shown]
	s_waitcnt vmcnt(2)
	v_mul_f64 v[0:1], v[78:79], v[74:75]
	v_mul_f64 v[2:3], v[76:77], v[74:75]
	v_fmac_f64_e32 v[0:1], v[76:77], v[72:73]
	v_fma_f64 v[2:3], v[78:79], v[72:73], -v[2:3]
	v_mul_f64 v[4:5], v[18:19], v[14:15]
	v_mul_f64 v[6:7], v[16:17], v[14:15]
	ds_write_b128 v112, v[0:3] offset:5040
	s_waitcnt vmcnt(0)
	v_mul_f64 v[0:1], v[86:87], v[82:83]
	v_mul_f64 v[2:3], v[84:85], v[82:83]
	v_fmac_f64_e32 v[4:5], v[16:17], v[12:13]
	v_fma_f64 v[6:7], v[18:19], v[12:13], -v[6:7]
	v_fmac_f64_e32 v[0:1], v[84:85], v[80:81]
	v_fma_f64 v[2:3], v[86:87], v[80:81], -v[2:3]
	ds_write_b128 v112, v[88:91]
	ds_write_b128 v112, v[4:7] offset:1120
	ds_write_b128 v112, v[0:3] offset:5600
.LBB0_3:
	s_or_b64 exec, exec, s[2:3]
	s_load_dwordx2 s[2:3], s[0:1], 0x20
	s_load_dwordx2 s[6:7], s[0:1], 0x8
	s_waitcnt lgkmcnt(0)
	; wave barrier
	s_waitcnt lgkmcnt(0)
                                        ; implicit-def: $vgpr4_vgpr5
                                        ; implicit-def: $vgpr8_vgpr9
                                        ; implicit-def: $vgpr12_vgpr13
                                        ; implicit-def: $vgpr16_vgpr17
                                        ; implicit-def: $vgpr20_vgpr21
                                        ; implicit-def: $vgpr24_vgpr25
                                        ; implicit-def: $vgpr28_vgpr29
                                        ; implicit-def: $vgpr32_vgpr33
                                        ; implicit-def: $vgpr36_vgpr37
                                        ; implicit-def: $vgpr40_vgpr41
                                        ; implicit-def: $vgpr44_vgpr45
	s_and_saveexec_b64 s[0:1], s[4:5]
	s_cbranch_execz .LBB0_5
; %bb.4:
	ds_read_b128 v[4:7], v112
	ds_read_b128 v[8:11], v112 offset:560
	ds_read_b128 v[12:15], v112 offset:1120
	;; [unrolled: 1-line block ×10, first 2 shown]
.LBB0_5:
	s_or_b64 exec, exec, s[0:1]
	s_mov_b32 s10, 0xf8bb580b
	s_waitcnt lgkmcnt(0)
	v_add_f64 v[64:65], v[10:11], -v[46:47]
	s_mov_b32 s0, 0x8764f0ba
	s_mov_b32 s11, 0xbfe14ced
	;; [unrolled: 1-line block ×3, first 2 shown]
	v_add_f64 v[56:57], v[8:9], v[44:45]
	s_mov_b32 s1, 0x3feaeb8c
	v_mul_f64 v[48:49], v[64:65], s[10:11]
	s_mov_b32 s8, 0xd9c712b6
	s_mov_b32 s21, 0xbfed1bb4
	v_add_f64 v[96:97], v[14:15], -v[42:43]
	v_add_f64 v[60:61], v[8:9], -v[44:45]
	v_fma_f64 v[0:1], s[0:1], v[56:57], v[48:49]
	s_mov_b32 s9, 0x3fda9628
	v_add_f64 v[68:69], v[12:13], v[40:41]
	v_mul_f64 v[52:53], v[96:97], s[20:21]
	v_add_f64 v[74:75], v[10:11], v[46:47]
	v_mul_f64 v[50:51], v[60:61], s[10:11]
	v_add_f64 v[0:1], v[4:5], v[0:1]
	v_fma_f64 v[2:3], s[8:9], v[68:69], v[52:53]
	v_add_f64 v[80:81], v[12:13], -v[40:41]
	v_add_f64 v[0:1], v[2:3], v[0:1]
	v_fma_f64 v[2:3], v[74:75], s[0:1], -v[50:51]
	v_add_f64 v[108:109], v[14:15], v[42:43]
	v_mul_f64 v[54:55], v[80:81], s[20:21]
	s_mov_b32 s22, 0x43842ef
	v_add_f64 v[2:3], v[6:7], v[2:3]
	v_fma_f64 v[58:59], v[108:109], s[8:9], -v[54:55]
	s_mov_b32 s16, 0x640f44db
	s_mov_b32 s23, 0xbfefac9e
	v_add_f64 v[128:129], v[18:19], -v[38:39]
	v_add_f64 v[2:3], v[58:59], v[2:3]
	s_mov_b32 s17, 0xbfc2375f
	v_add_f64 v[90:91], v[16:17], v[36:37]
	v_mul_f64 v[58:59], v[128:129], s[22:23]
	v_fma_f64 v[62:63], s[16:17], v[90:91], v[58:59]
	v_add_f64 v[118:119], v[16:17], -v[36:37]
	v_add_f64 v[0:1], v[62:63], v[0:1]
	v_add_f64 v[146:147], v[18:19], v[38:39]
	v_mul_f64 v[62:63], v[118:119], s[22:23]
	s_mov_b32 s26, 0xbb3a28a1
	v_fma_f64 v[66:67], v[146:147], s[16:17], -v[62:63]
	s_mov_b32 s24, 0x7f775887
	s_mov_b32 s27, 0xbfe82f19
	v_add_f64 v[156:157], v[22:23], -v[34:35]
	v_add_f64 v[2:3], v[66:67], v[2:3]
	s_mov_b32 s25, 0xbfe4f49e
	v_add_f64 v[120:121], v[20:21], v[32:33]
	v_mul_f64 v[66:67], v[156:157], s[26:27]
	v_add_f64 v[138:139], v[20:21], -v[32:33]
	s_mov_b32 s34, 0xfd768dbf
	v_fma_f64 v[70:71], s[24:25], v[120:121], v[66:67]
	v_add_f64 v[132:133], v[22:23], v[34:35]
	v_mul_f64 v[76:77], v[138:139], s[26:27]
	s_mov_b32 s28, 0x9bcd5057
	s_mov_b32 s35, 0x3fd207e7
	;; [unrolled: 1-line block ×4, first 2 shown]
	v_add_f64 v[168:169], v[26:27], -v[30:31]
	v_add_f64 v[0:1], v[70:71], v[0:1]
	v_fma_f64 v[70:71], v[132:133], s[24:25], -v[76:77]
	s_mov_b32 s29, 0xbfeeb42a
	v_add_f64 v[136:137], v[24:25], v[28:29]
	v_mul_f64 v[78:79], v[168:169], s[30:31]
	v_add_f64 v[162:163], v[24:25], -v[28:29]
	v_add_f64 v[2:3], v[70:71], v[2:3]
	v_fma_f64 v[70:71], s[28:29], v[136:137], v[78:79]
	v_add_f64 v[140:141], v[26:27], v[30:31]
	v_mul_f64 v[92:93], v[162:163], s[30:31]
	v_add_f64 v[0:1], v[70:71], v[0:1]
	v_fma_f64 v[70:71], v[140:141], s[28:29], -v[92:93]
	v_mul_f64 v[94:95], v[64:65], s[20:21]
	v_add_f64 v[2:3], v[70:71], v[2:3]
	v_fma_f64 v[70:71], s[8:9], v[56:57], v[94:95]
	v_mul_f64 v[98:99], v[96:97], s[26:27]
	v_add_f64 v[70:71], v[4:5], v[70:71]
	v_fma_f64 v[72:73], s[24:25], v[68:69], v[98:99]
	v_mul_f64 v[102:103], v[60:61], s[20:21]
	v_add_f64 v[70:71], v[72:73], v[70:71]
	v_fma_f64 v[72:73], v[74:75], s[8:9], -v[102:103]
	v_mul_f64 v[104:105], v[80:81], s[26:27]
	v_add_f64 v[72:73], v[6:7], v[72:73]
	v_fma_f64 v[82:83], v[108:109], s[24:25], -v[104:105]
	v_mul_f64 v[100:101], v[128:129], s[34:35]
	v_add_f64 v[72:73], v[82:83], v[72:73]
	v_fma_f64 v[82:83], s[28:29], v[90:91], v[100:101]
	v_mul_f64 v[110:111], v[118:119], s[34:35]
	s_mov_b32 s41, 0x3fefac9e
	s_mov_b32 s40, s22
	v_add_f64 v[70:71], v[82:83], v[70:71]
	v_fma_f64 v[82:83], v[146:147], s[28:29], -v[110:111]
	v_mul_f64 v[106:107], v[156:157], s[40:41]
	v_add_f64 v[72:73], v[82:83], v[72:73]
	v_fma_f64 v[82:83], s[16:17], v[120:121], v[106:107]
	v_mul_f64 v[124:125], v[138:139], s[40:41]
	s_mov_b32 s37, 0x3fe14ced
	s_mov_b32 s36, s10
	v_add_f64 v[70:71], v[82:83], v[70:71]
	v_fma_f64 v[82:83], v[132:133], s[16:17], -v[124:125]
	v_mul_f64 v[122:123], v[168:169], s[36:37]
	v_add_f64 v[72:73], v[82:83], v[72:73]
	v_fma_f64 v[82:83], s[0:1], v[136:137], v[122:123]
	v_mul_f64 v[126:127], v[162:163], s[36:37]
	v_add_f64 v[70:71], v[82:83], v[70:71]
	v_fma_f64 v[82:83], v[140:141], s[0:1], -v[126:127]
	v_mul_f64 v[130:131], v[64:65], s[22:23]
	v_add_f64 v[72:73], v[82:83], v[72:73]
	v_fma_f64 v[82:83], s[16:17], v[56:57], v[130:131]
	v_mul_f64 v[134:135], v[96:97], s[34:35]
	v_add_f64 v[82:83], v[4:5], v[82:83]
	v_fma_f64 v[84:85], s[28:29], v[68:69], v[134:135]
	v_mul_f64 v[144:145], v[60:61], s[22:23]
	v_add_f64 v[82:83], v[84:85], v[82:83]
	v_fma_f64 v[84:85], v[74:75], s[16:17], -v[144:145]
	v_mul_f64 v[148:149], v[80:81], s[34:35]
	s_mov_b32 s39, 0x3fed1bb4
	s_mov_b32 s38, s20
	v_add_f64 v[84:85], v[6:7], v[84:85]
	v_fma_f64 v[86:87], v[108:109], s[28:29], -v[148:149]
	v_mul_f64 v[142:143], v[128:129], s[38:39]
	v_add_f64 v[84:85], v[86:87], v[84:85]
	v_fma_f64 v[86:87], s[8:9], v[90:91], v[142:143]
	v_mul_f64 v[154:155], v[118:119], s[38:39]
	v_add_f64 v[82:83], v[86:87], v[82:83]
	v_fma_f64 v[86:87], v[146:147], s[8:9], -v[154:155]
	v_mul_f64 v[150:151], v[156:157], s[10:11]
	v_add_f64 v[84:85], v[86:87], v[84:85]
	v_fma_f64 v[86:87], s[0:1], v[120:121], v[150:151]
	v_mul_f64 v[158:159], v[138:139], s[10:11]
	;; [unrolled: 6-line block ×4, first 2 shown]
	v_add_f64 v[86:87], v[4:5], v[86:87]
	v_fma_f64 v[88:89], s[16:17], v[68:69], v[166:167]
	v_mul_f64 v[172:173], v[60:61], s[26:27]
	v_add_f64 v[86:87], v[88:89], v[86:87]
	v_fma_f64 v[88:89], v[74:75], s[24:25], -v[172:173]
	v_mul_f64 v[176:177], v[80:81], s[40:41]
	v_add_f64 v[88:89], v[6:7], v[88:89]
	v_fma_f64 v[170:171], v[108:109], s[16:17], -v[176:177]
	v_add_f64 v[88:89], v[170:171], v[88:89]
	v_mul_f64 v[170:171], v[128:129], s[10:11]
	v_fma_f64 v[174:175], s[0:1], v[90:91], v[170:171]
	v_mul_f64 v[180:181], v[118:119], s[10:11]
	v_add_f64 v[86:87], v[174:175], v[86:87]
	v_fma_f64 v[174:175], v[146:147], s[0:1], -v[180:181]
	v_add_f64 v[88:89], v[174:175], v[88:89]
	v_mul_f64 v[174:175], v[156:157], s[30:31]
	v_fma_f64 v[178:179], s[28:29], v[120:121], v[174:175]
	;; [unrolled: 6-line block ×3, first 2 shown]
	v_add_f64 v[86:87], v[184:185], v[86:87]
	v_mul_f64 v[184:185], v[162:163], s[38:39]
	v_fma_f64 v[186:187], v[140:141], s[8:9], -v[184:185]
	v_add_f64 v[88:89], v[186:187], v[88:89]
	v_mul_lo_u16_e32 v113, 11, v114
	s_waitcnt lgkmcnt(0)
	; wave barrier
	s_and_saveexec_b64 s[18:19], s[4:5]
	s_cbranch_execz .LBB0_7
; %bb.6:
	v_mul_f64 v[192:193], v[74:75], s[0:1]
	v_mul_f64 v[196:197], v[74:75], s[8:9]
	v_mul_f64 v[200:201], v[74:75], s[16:17]
	v_mul_f64 v[204:205], v[74:75], s[24:25]
	v_mul_f64 v[74:75], v[74:75], s[28:29]
	v_mul_f64 v[208:209], v[108:109], s[8:9]
	v_mul_f64 v[212:213], v[108:109], s[24:25]
	v_mul_f64 v[216:217], v[108:109], s[28:29]
	v_mul_f64 v[220:221], v[108:109], s[16:17]
	v_mul_f64 v[244:245], v[132:133], s[8:9]
	v_mul_f64 v[108:109], v[108:109], s[0:1]
	v_fma_f64 v[248:249], s[34:35], v[60:61], v[74:75]
	v_mul_f64 v[224:225], v[146:147], s[16:17]
	v_mul_f64 v[228:229], v[146:147], s[28:29]
	;; [unrolled: 1-line block ×4, first 2 shown]
	v_fma_f64 v[188:189], s[20:21], v[138:139], v[244:245]
	v_mul_f64 v[146:147], v[146:147], s[24:25]
	s_mov_b32 s21, 0x3fe82f19
	s_mov_b32 s20, s26
	v_fma_f64 v[246:247], s[10:11], v[80:81], v[108:109]
	v_add_f64 v[248:249], v[6:7], v[248:249]
	v_add_f64 v[246:247], v[246:247], v[248:249]
	v_fma_f64 v[248:249], s[20:21], v[118:119], v[146:147]
	v_mul_f64 v[242:243], v[140:141], s[16:17]
	v_add_f64 v[246:247], v[248:249], v[246:247]
	v_mul_f64 v[64:65], v[64:65], s[30:31]
	v_fma_f64 v[186:187], s[40:41], v[162:163], v[242:243]
	v_add_f64 v[188:189], v[188:189], v[246:247]
	v_mul_f64 v[96:97], v[96:97], s[36:37]
	v_fma_f64 v[246:247], s[28:29], v[56:57], v[64:65]
	v_fmac_f64_e32 v[74:75], s[30:31], v[60:61]
	v_add_f64 v[188:189], v[186:187], v[188:189]
	v_mul_f64 v[128:129], v[128:129], s[26:27]
	v_fma_f64 v[186:187], s[0:1], v[68:69], v[96:97]
	v_add_f64 v[246:247], v[4:5], v[246:247]
	v_fmac_f64_e32 v[108:109], s[36:37], v[80:81]
	v_add_f64 v[74:75], v[6:7], v[74:75]
	v_mul_f64 v[156:157], v[156:157], s[38:39]
	v_add_f64 v[186:187], v[186:187], v[246:247]
	v_fma_f64 v[246:247], s[24:25], v[90:91], v[128:129]
	v_fmac_f64_e32 v[146:147], s[26:27], v[118:119]
	v_add_f64 v[74:75], v[108:109], v[74:75]
	v_mul_f64 v[190:191], v[56:57], s[0:1]
	v_mul_f64 v[194:195], v[56:57], s[8:9]
	v_mul_f64 v[198:199], v[56:57], s[16:17]
	v_mul_f64 v[202:203], v[56:57], s[24:25]
	v_mul_f64 v[168:169], v[168:169], s[22:23]
	v_add_f64 v[186:187], v[246:247], v[186:187]
	v_fma_f64 v[246:247], s[8:9], v[120:121], v[156:157]
	v_fmac_f64_e32 v[244:245], s[38:39], v[138:139]
	v_add_f64 v[74:75], v[146:147], v[74:75]
	v_fma_f64 v[56:57], v[56:57], s[28:29], -v[64:65]
	v_mul_f64 v[206:207], v[68:69], s[8:9]
	v_mul_f64 v[210:211], v[68:69], s[24:25]
	;; [unrolled: 1-line block ×4, first 2 shown]
	v_add_f64 v[186:187], v[246:247], v[186:187]
	v_fma_f64 v[246:247], s[16:17], v[136:137], v[168:169]
	v_fmac_f64_e32 v[242:243], s[22:23], v[162:163]
	v_add_f64 v[74:75], v[244:245], v[74:75]
	v_fma_f64 v[68:69], v[68:69], s[0:1], -v[96:97]
	v_add_f64 v[56:57], v[4:5], v[56:57]
	v_mul_f64 v[222:223], v[90:91], s[16:17]
	v_mul_f64 v[226:227], v[90:91], s[28:29]
	;; [unrolled: 1-line block ×5, first 2 shown]
	v_add_f64 v[186:187], v[246:247], v[186:187]
	v_mul_f64 v[246:247], v[120:121], s[16:17]
	v_mul_f64 v[162:163], v[120:121], s[0:1]
	;; [unrolled: 1-line block ×3, first 2 shown]
	v_fma_f64 v[118:119], v[120:121], s[8:9], -v[156:157]
	v_add_f64 v[120:121], v[242:243], v[74:75]
	v_fma_f64 v[74:75], v[90:91], s[24:25], -v[128:129]
	v_add_f64 v[56:57], v[68:69], v[56:57]
	v_add_f64 v[90:91], v[172:173], v[204:205]
	;; [unrolled: 1-line block ×5, first 2 shown]
	v_mul_f64 v[240:241], v[132:133], s[24:25]
	v_mul_f64 v[248:249], v[132:133], s[16:17]
	;; [unrolled: 1-line block ×4, first 2 shown]
	v_add_f64 v[68:69], v[180:181], v[236:237]
	v_add_f64 v[74:75], v[74:75], v[90:91]
	v_add_f64 v[90:91], v[202:203], -v[164:165]
	v_mul_f64 v[60:61], v[140:141], s[28:29]
	v_mul_f64 v[146:147], v[140:141], s[0:1]
	;; [unrolled: 1-line block ×3, first 2 shown]
	v_fma_f64 v[138:139], v[136:137], s[16:17], -v[168:169]
	v_mul_f64 v[140:141], v[140:141], s[8:9]
	v_add_f64 v[56:57], v[118:119], v[56:57]
	v_add_f64 v[64:65], v[182:183], v[132:133]
	;; [unrolled: 1-line block ×3, first 2 shown]
	v_add_f64 v[74:75], v[218:219], -v[166:167]
	v_add_f64 v[90:91], v[4:5], v[90:91]
	v_add_f64 v[118:119], v[138:139], v[56:57]
	v_add_f64 v[56:57], v[184:185], v[140:141]
	v_add_f64 v[64:65], v[64:65], v[68:69]
	v_add_f64 v[68:69], v[234:235], -v[170:171]
	v_add_f64 v[74:75], v[74:75], v[90:91]
	v_add_f64 v[90:91], v[144:145], v[200:201]
	v_mul_f64 v[80:81], v[136:137], s[28:29]
	v_mul_f64 v[108:109], v[136:137], s[0:1]
	;; [unrolled: 1-line block ×4, first 2 shown]
	v_add_f64 v[138:139], v[56:57], v[64:65]
	v_add_f64 v[64:65], v[252:253], -v[174:175]
	v_add_f64 v[68:69], v[68:69], v[74:75]
	v_add_f64 v[74:75], v[148:149], v[216:217]
	v_add_f64 v[90:91], v[6:7], v[90:91]
	v_add_f64 v[56:57], v[136:137], -v[178:179]
	v_add_f64 v[64:65], v[64:65], v[68:69]
	v_add_f64 v[68:69], v[154:155], v[232:233]
	;; [unrolled: 4-line block ×4, first 2 shown]
	v_add_f64 v[68:69], v[230:231], -v[142:143]
	v_add_f64 v[74:75], v[74:75], v[90:91]
	v_add_f64 v[90:91], v[102:103], v[196:197]
	;; [unrolled: 1-line block ×7, first 2 shown]
	v_add_f64 v[90:91], v[194:195], -v[94:95]
	v_add_f64 v[50:51], v[50:51], v[192:193]
	v_add_f64 v[48:49], v[190:191], -v[48:49]
	v_add_f64 v[132:133], v[56:57], v[64:65]
	v_add_f64 v[64:65], v[162:163], -v[150:151]
	v_add_f64 v[90:91], v[4:5], v[90:91]
	v_add_f64 v[50:51], v[6:7], v[50:51]
	v_add_f64 v[48:49], v[4:5], v[48:49]
	;; [unrolled: 1-line block ×4, first 2 shown]
	v_add_f64 v[56:57], v[244:245], -v[152:153]
	v_add_f64 v[64:65], v[64:65], v[68:69]
	v_add_f64 v[68:69], v[110:111], v[228:229]
	v_add_f64 v[6:7], v[6:7], v[14:15]
	v_add_f64 v[4:5], v[4:5], v[12:13]
	v_add_f64 v[130:131], v[56:57], v[64:65]
	v_add_f64 v[64:65], v[124:125], v[248:249]
	v_add_f64 v[68:69], v[68:69], v[74:75]
	v_add_f64 v[74:75], v[210:211], -v[98:99]
	v_add_f64 v[6:7], v[6:7], v[18:19]
	v_add_f64 v[4:5], v[4:5], v[16:17]
	v_add_f64 v[56:57], v[126:127], v[146:147]
	v_add_f64 v[64:65], v[64:65], v[68:69]
	v_add_f64 v[68:69], v[226:227], -v[100:101]
	v_add_f64 v[74:75], v[74:75], v[90:91]
	v_add_f64 v[6:7], v[6:7], v[22:23]
	v_add_f64 v[4:5], v[4:5], v[20:21]
	v_add_f64 v[96:97], v[56:57], v[64:65]
	;; [unrolled: 5-line block ×4, first 2 shown]
	v_add_f64 v[4:5], v[4:5], v[28:29]
	v_add_f64 v[94:95], v[56:57], v[64:65]
	;; [unrolled: 1-line block ×5, first 2 shown]
	v_add_f64 v[52:53], v[206:207], -v[52:53]
	v_add_f64 v[6:7], v[6:7], v[34:35]
	v_add_f64 v[4:5], v[4:5], v[32:33]
	;; [unrolled: 1-line block ×3, first 2 shown]
	v_add_f64 v[58:59], v[222:223], -v[58:59]
	v_add_f64 v[48:49], v[52:53], v[48:49]
	v_add_f64 v[6:7], v[6:7], v[38:39]
	;; [unrolled: 1-line block ×4, first 2 shown]
	v_add_f64 v[56:57], v[238:239], -v[66:67]
	v_add_f64 v[48:49], v[58:59], v[48:49]
	v_add_f64 v[6:7], v[6:7], v[42:43]
	;; [unrolled: 1-line block ×3, first 2 shown]
	v_add_f64 v[54:55], v[80:81], -v[78:79]
	v_add_f64 v[48:49], v[56:57], v[48:49]
	v_add_f64 v[6:7], v[6:7], v[46:47]
	;; [unrolled: 1-line block ×3, first 2 shown]
	v_lshlrev_b32_e32 v8, 4, v113
	v_add_f64 v[48:49], v[54:55], v[48:49]
	ds_write_b128 v8, v[4:7]
	ds_write_b128 v8, v[48:51] offset:16
	ds_write_b128 v8, v[94:97] offset:32
	;; [unrolled: 1-line block ×10, first 2 shown]
.LBB0_7:
	s_or_b64 exec, exec, s[18:19]
	s_movk_i32 s0, 0x75
	v_mul_lo_u16_sdwa v4, v114, s0 dst_sel:DWORD dst_unused:UNUSED_PAD src0_sel:BYTE_0 src1_sel:DWORD
	v_sub_u16_sdwa v5, v114, v4 dst_sel:DWORD dst_unused:UNUSED_PAD src0_sel:DWORD src1_sel:BYTE_1
	v_lshrrev_b16_e32 v5, 1, v5
	v_and_b32_e32 v5, 0x7f, v5
	v_add_u16_sdwa v4, v5, v4 dst_sel:DWORD dst_unused:UNUSED_PAD src0_sel:DWORD src1_sel:BYTE_1
	v_lshrrev_b16_e32 v94, 3, v4
	v_mul_lo_u16_e32 v4, 11, v94
	v_sub_u16_e32 v4, v114, v4
	v_and_b32_e32 v95, 0xff, v4
	v_mul_u32_u24_e32 v4, 6, v95
	v_lshlrev_b32_e32 v20, 4, v4
	s_load_dwordx4 s[8:11], s[2:3], 0x0
	s_waitcnt lgkmcnt(0)
	; wave barrier
	s_waitcnt lgkmcnt(0)
	global_load_dwordx4 v[16:19], v20, s[6:7]
	global_load_dwordx4 v[12:15], v20, s[6:7] offset:16
	global_load_dwordx4 v[8:11], v20, s[6:7] offset:32
	;; [unrolled: 1-line block ×5, first 2 shown]
	ds_read_b128 v[20:23], v112
	ds_read_b128 v[24:27], v112 offset:880
	ds_read_b128 v[28:31], v112 offset:1760
	;; [unrolled: 1-line block ×6, first 2 shown]
	s_mov_b32 s16, 0xe976ee23
	s_mov_b32 s17, 0xbfe11646
	;; [unrolled: 1-line block ×6, first 2 shown]
	s_waitcnt lgkmcnt(0)
	; wave barrier
	s_waitcnt vmcnt(5) lgkmcnt(0)
	v_mul_f64 v[56:57], v[26:27], v[18:19]
	v_mul_f64 v[58:59], v[24:25], v[18:19]
	s_waitcnt vmcnt(4)
	v_mul_f64 v[60:61], v[30:31], v[14:15]
	s_waitcnt vmcnt(3)
	v_mul_f64 v[64:65], v[34:35], v[10:11]
	v_mul_f64 v[66:67], v[32:33], v[10:11]
	s_waitcnt vmcnt(1)
	v_mul_f64 v[76:77], v[50:51], v[42:43]
	s_waitcnt vmcnt(0)
	v_mul_f64 v[80:81], v[54:55], v[38:39]
	v_mul_f64 v[62:63], v[28:29], v[14:15]
	;; [unrolled: 1-line block ×6, first 2 shown]
	v_fma_f64 v[24:25], v[24:25], v[16:17], -v[56:57]
	v_fmac_f64_e32 v[58:59], v[26:27], v[16:17]
	v_fma_f64 v[26:27], v[28:29], v[12:13], -v[60:61]
	v_fma_f64 v[28:29], v[32:33], v[8:9], -v[64:65]
	v_fmac_f64_e32 v[66:67], v[34:35], v[8:9]
	v_fma_f64 v[32:33], v[48:49], v[40:41], -v[76:77]
	;; [unrolled: 3-line block ×3, first 2 shown]
	v_fmac_f64_e32 v[74:75], v[46:47], v[4:5]
	v_fmac_f64_e32 v[78:79], v[50:51], v[40:41]
	;; [unrolled: 1-line block ×3, first 2 shown]
	v_add_f64 v[44:45], v[24:25], v[34:35]
	v_add_f64 v[48:49], v[26:27], v[32:33]
	;; [unrolled: 1-line block ×4, first 2 shown]
	v_add_f64 v[26:27], v[26:27], -v[32:33]
	v_add_f64 v[32:33], v[62:63], -v[78:79]
	v_add_f64 v[52:53], v[28:29], v[30:31]
	v_add_f64 v[28:29], v[30:31], -v[28:29]
	v_add_f64 v[30:31], v[74:75], -v[66:67]
	v_add_f64 v[56:57], v[48:49], v[44:45]
	;; [unrolled: 3-line block ×3, first 2 shown]
	v_add_f64 v[58:59], v[50:51], v[46:47]
	v_add_f64 v[60:61], v[48:49], -v[44:45]
	v_add_f64 v[44:45], v[44:45], -v[52:53]
	v_add_f64 v[48:49], v[52:53], -v[48:49]
	v_add_f64 v[64:65], v[28:29], v[26:27]
	v_add_f64 v[66:67], v[30:31], v[32:33]
	v_add_f64 v[68:69], v[28:29], -v[26:27]
	v_add_f64 v[74:75], v[30:31], -v[32:33]
	v_add_f64 v[52:53], v[52:53], v[56:57]
	v_add_f64 v[62:63], v[50:51], -v[46:47]
	v_add_f64 v[46:47], v[46:47], -v[54:55]
	;; [unrolled: 1-line block ×7, first 2 shown]
	v_add_f64 v[54:55], v[54:55], v[58:59]
	v_add_f64 v[24:25], v[64:65], v[24:25]
	;; [unrolled: 1-line block ×3, first 2 shown]
	v_mul_f64 v[64:65], v[68:69], s[16:17]
	v_mul_f64 v[66:67], v[74:75], s[16:17]
	v_add_f64 v[20:21], v[20:21], v[52:53]
	s_mov_b32 s16, 0xaaaaaaaa
	v_add_f64 v[22:23], v[22:23], v[54:55]
	s_mov_b32 s17, 0xbff2aaaa
	v_mov_b64_e32 v[76:77], v[20:21]
	v_fmac_f64_e32 v[76:77], s[16:17], v[52:53]
	v_mov_b64_e32 v[52:53], v[22:23]
	v_mul_f64 v[56:57], v[48:49], s[0:1]
	v_mul_f64 v[58:59], v[50:51], s[0:1]
	v_fmac_f64_e32 v[52:53], s[16:17], v[54:55]
	s_mov_b32 s17, 0x3fe77f67
	s_mov_b32 s16, 0x5476071b
	v_mul_f64 v[44:45], v[44:45], s[2:3]
	v_mul_f64 v[46:47], v[46:47], s[2:3]
	s_mov_b32 s2, 0x429ad128
	v_fma_f64 v[54:55], v[60:61], s[16:17], -v[56:57]
	v_fma_f64 v[56:57], v[62:63], s[16:17], -v[58:59]
	s_mov_b32 s17, 0xbfe77f67
	s_mov_b32 s3, 0x3febfeb5
	v_fma_f64 v[48:49], s[0:1], v[48:49], v[44:45]
	v_fma_f64 v[58:59], v[62:63], s[16:17], -v[46:47]
	v_fmac_f64_e32 v[46:47], s[0:1], v[50:51]
	s_mov_b32 s1, 0x3fd5d0dc
	s_mov_b32 s0, 0xb247c609
	v_mul_f64 v[68:69], v[26:27], s[2:3]
	v_mul_f64 v[74:75], v[32:33], s[2:3]
	v_fma_f64 v[50:51], s[0:1], v[28:29], v[64:65]
	v_fma_f64 v[62:63], v[32:33], s[2:3], -v[66:67]
	v_fmac_f64_e32 v[66:67], s[0:1], v[30:31]
	s_mov_b32 s1, 0xbfd5d0dc
	v_fma_f64 v[44:45], v[60:61], s[16:17], -v[44:45]
	v_fma_f64 v[60:61], v[26:27], s[2:3], -v[64:65]
	;; [unrolled: 1-line block ×4, first 2 shown]
	s_mov_b32 s0, 0x37c3f68c
	s_mov_b32 s1, 0x3fdc38aa
	v_add_f64 v[48:49], v[48:49], v[76:77]
	v_fmac_f64_e32 v[66:67], s[0:1], v[34:35]
	v_fmac_f64_e32 v[50:51], s[0:1], v[24:25]
	;; [unrolled: 1-line block ×4, first 2 shown]
	v_add_f64 v[24:25], v[66:67], v[48:49]
	v_add_f64 v[90:91], v[48:49], -v[66:67]
	v_mul_u32_u24_e32 v48, 0x4d, v94
	v_add_f64 v[74:75], v[46:47], v[52:53]
	v_add_f64 v[46:47], v[54:55], v[76:77]
	;; [unrolled: 1-line block ×5, first 2 shown]
	v_fmac_f64_e32 v[62:63], s[0:1], v[34:35]
	v_fmac_f64_e32 v[68:69], s[0:1], v[34:35]
	v_add_lshl_u32 v218, v48, v95, 4
	v_add_f64 v[26:27], v[74:75], -v[50:51]
	v_add_f64 v[28:29], v[68:69], v[56:57]
	v_add_f64 v[30:31], v[52:53], -v[64:65]
	v_add_f64 v[32:33], v[46:47], -v[62:63]
	v_add_f64 v[34:35], v[60:61], v[54:55]
	v_add_f64 v[44:45], v[62:63], v[46:47]
	v_add_f64 v[46:47], v[54:55], -v[60:61]
	v_add_f64 v[60:61], v[56:57], -v[68:69]
	v_add_f64 v[62:63], v[64:65], v[52:53]
	v_add_f64 v[92:93], v[50:51], v[74:75]
	ds_write_b128 v218, v[20:23]
	ds_write_b128 v218, v[24:27] offset:176
	ds_write_b128 v218, v[28:31] offset:352
	;; [unrolled: 1-line block ×6, first 2 shown]
	s_waitcnt lgkmcnt(0)
	; wave barrier
	s_waitcnt lgkmcnt(0)
	ds_read_b128 v[64:67], v112
	ds_read_b128 v[98:101], v112 offset:1232
	ds_read_b128 v[94:97], v112 offset:2464
	;; [unrolled: 1-line block ×4, first 2 shown]
	v_cmp_gt_u16_e64 s[2:3], 22, v114
	s_and_saveexec_b64 s[0:1], s[2:3]
	s_cbranch_execz .LBB0_9
; %bb.8:
	ds_read_b128 v[60:63], v112 offset:880
	ds_read_b128 v[90:93], v112 offset:2112
	;; [unrolled: 1-line block ×5, first 2 shown]
.LBB0_9:
	s_or_b64 exec, exec, s[0:1]
	s_movk_i32 s0, 0xffea
	v_lshlrev_b32_e32 v20, 6, v114
	s_mov_b32 s1, -1
	global_load_dwordx4 v[56:59], v20, s[6:7] offset:1056
	global_load_dwordx4 v[52:55], v20, s[6:7] offset:1072
	;; [unrolled: 1-line block ×4, first 2 shown]
	v_lshl_add_u64 v[20:21], v[114:115], 0, 55
	v_lshl_add_u64 v[22:23], v[114:115], 0, s[0:1]
	v_cndmask_b32_e64 v21, v23, v21, s[2:3]
	v_cndmask_b32_e64 v20, v22, v20, s[2:3]
	v_lshlrev_b64 v[20:21], 6, v[20:21]
	v_lshl_add_u64 v[68:69], s[6:7], 0, v[20:21]
	global_load_dwordx4 v[228:231], v[68:69], off offset:1056
	global_load_dwordx4 v[236:239], v[68:69], off offset:1072
	;; [unrolled: 1-line block ×4, first 2 shown]
	s_mov_b32 s6, 0x134454ff
	s_mov_b32 s7, 0x3fee6f0e
	;; [unrolled: 1-line block ×10, first 2 shown]
	s_waitcnt vmcnt(7) lgkmcnt(3)
	v_mul_f64 v[68:69], v[100:101], v[58:59]
	s_waitcnt vmcnt(6) lgkmcnt(2)
	v_mul_f64 v[104:105], v[96:97], v[54:55]
	v_mul_f64 v[106:107], v[94:95], v[54:55]
	s_waitcnt vmcnt(5) lgkmcnt(1)
	v_mul_f64 v[108:109], v[80:81], v[50:51]
	s_waitcnt vmcnt(4) lgkmcnt(0)
	v_mul_f64 v[118:119], v[76:77], v[46:47]
	v_mul_f64 v[102:103], v[98:99], v[58:59]
	;; [unrolled: 1-line block ×4, first 2 shown]
	v_fma_f64 v[98:99], v[98:99], v[56:57], -v[68:69]
	v_fma_f64 v[94:95], v[94:95], v[52:53], -v[104:105]
	v_fmac_f64_e32 v[106:107], v[96:97], v[52:53]
	v_fma_f64 v[78:79], v[78:79], v[48:49], -v[108:109]
	v_fma_f64 v[96:97], v[74:75], v[44:45], -v[118:119]
	v_fmac_f64_e32 v[102:103], v[100:101], v[56:57]
	v_fmac_f64_e32 v[120:121], v[76:77], v[44:45]
	v_add_f64 v[68:69], v[64:65], v[98:99]
	v_add_f64 v[74:75], v[94:95], v[78:79]
	v_add_f64 v[76:77], v[98:99], -v[94:95]
	v_add_f64 v[108:109], v[96:97], -v[78:79]
	v_add_f64 v[118:119], v[98:99], v[96:97]
	v_add_f64 v[122:123], v[94:95], -v[98:99]
	v_add_f64 v[124:125], v[78:79], -v[96:97]
	v_fmac_f64_e32 v[110:111], v[80:81], v[48:49]
	v_add_f64 v[100:101], v[102:103], -v[120:121]
	v_add_f64 v[126:127], v[66:67], v[102:103]
	v_add_f64 v[68:69], v[68:69], v[94:95]
	v_fma_f64 v[80:81], -0.5, v[74:75], v[64:65]
	v_add_f64 v[74:75], v[76:77], v[108:109]
	v_fmac_f64_e32 v[64:65], -0.5, v[118:119]
	v_add_f64 v[108:109], v[122:123], v[124:125]
	s_waitcnt vmcnt(3)
	v_mul_f64 v[118:119], v[92:93], v[230:231]
	s_waitcnt vmcnt(2)
	v_mul_f64 v[124:125], v[88:89], v[238:239]
	;; [unrolled: 2-line block ×4, first 2 shown]
	v_add_f64 v[104:105], v[106:107], -v[110:111]
	v_mul_f64 v[122:123], v[90:91], v[230:231]
	v_mul_f64 v[136:137], v[70:71], v[226:227]
	v_add_f64 v[138:139], v[68:69], v[78:79]
	v_fma_f64 v[68:69], s[6:7], v[100:101], v[80:81]
	v_fmac_f64_e32 v[80:81], s[18:19], v[100:101]
	v_fma_f64 v[90:91], v[90:91], v[228:229], -v[118:119]
	v_fma_f64 v[118:119], v[86:87], v[236:237], -v[124:125]
	;; [unrolled: 1-line block ×4, first 2 shown]
	v_add_f64 v[70:71], v[126:127], v[106:107]
	v_fmac_f64_e32 v[68:69], s[0:1], v[104:105]
	v_fmac_f64_e32 v[80:81], s[20:21], v[104:105]
	v_add_f64 v[70:71], v[70:71], v[110:111]
	v_mul_f64 v[132:133], v[82:83], v[234:235]
	v_fmac_f64_e32 v[68:69], s[16:17], v[74:75]
	v_fmac_f64_e32 v[80:81], s[16:17], v[74:75]
	v_add_f64 v[74:75], v[70:71], v[120:121]
	v_add_f64 v[70:71], v[106:107], v[110:111]
	v_mul_f64 v[128:129], v[86:87], v[238:239]
	v_fmac_f64_e32 v[132:133], v[84:85], v[232:233]
	v_fma_f64 v[82:83], -0.5, v[70:71], v[66:67]
	v_add_f64 v[84:85], v[98:99], -v[96:97]
	v_fmac_f64_e32 v[128:129], v[88:89], v[236:237]
	v_fma_f64 v[70:71], s[18:19], v[84:85], v[82:83]
	v_add_f64 v[86:87], v[94:95], -v[78:79]
	v_add_f64 v[78:79], v[102:103], -v[106:107]
	;; [unrolled: 1-line block ×3, first 2 shown]
	v_fmac_f64_e32 v[82:83], s[6:7], v[84:85]
	v_fmac_f64_e32 v[70:71], s[20:21], v[86:87]
	v_add_f64 v[78:79], v[78:79], v[88:89]
	v_fmac_f64_e32 v[82:83], s[0:1], v[86:87]
	v_fmac_f64_e32 v[70:71], s[16:17], v[78:79]
	;; [unrolled: 1-line block ×3, first 2 shown]
	v_add_f64 v[78:79], v[102:103], v[120:121]
	v_fmac_f64_e32 v[66:67], -0.5, v[78:79]
	v_fmac_f64_e32 v[122:123], v[92:93], v[228:229]
	v_fmac_f64_e32 v[136:137], v[72:73], v[224:225]
	v_fma_f64 v[78:79], s[6:7], v[86:87], v[66:67]
	v_add_f64 v[88:89], v[106:107], -v[102:103]
	v_add_f64 v[92:93], v[110:111], -v[120:121]
	v_fmac_f64_e32 v[66:67], s[18:19], v[86:87]
	v_add_f64 v[86:87], v[118:119], v[124:125]
	v_fmac_f64_e32 v[78:79], s[20:21], v[84:85]
	v_add_f64 v[88:89], v[88:89], v[92:93]
	v_fmac_f64_e32 v[66:67], s[0:1], v[84:85]
	v_fma_f64 v[92:93], -0.5, v[86:87], v[60:61]
	v_add_f64 v[86:87], v[122:123], -v[136:137]
	v_add_f64 v[72:73], v[138:139], v[96:97]
	v_fmac_f64_e32 v[78:79], s[16:17], v[88:89]
	v_fmac_f64_e32 v[66:67], s[16:17], v[88:89]
	v_fma_f64 v[88:89], s[6:7], v[86:87], v[92:93]
	v_add_f64 v[94:95], v[128:129], -v[132:133]
	v_add_f64 v[96:97], v[90:91], -v[118:119]
	;; [unrolled: 1-line block ×3, first 2 shown]
	v_fmac_f64_e32 v[92:93], s[18:19], v[86:87]
	v_fmac_f64_e32 v[88:89], s[0:1], v[94:95]
	v_add_f64 v[96:97], v[96:97], v[98:99]
	v_fmac_f64_e32 v[92:93], s[20:21], v[94:95]
	v_fmac_f64_e32 v[88:89], s[16:17], v[96:97]
	;; [unrolled: 1-line block ×3, first 2 shown]
	v_add_f64 v[96:97], v[90:91], v[130:131]
	v_fma_f64 v[76:77], s[18:19], v[104:105], v[64:65]
	v_fmac_f64_e32 v[64:65], s[6:7], v[104:105]
	v_add_f64 v[84:85], v[60:61], v[90:91]
	v_fmac_f64_e32 v[60:61], -0.5, v[96:97]
	v_fmac_f64_e32 v[76:77], s[0:1], v[100:101]
	v_fmac_f64_e32 v[64:65], s[20:21], v[100:101]
	v_fma_f64 v[96:97], s[18:19], v[94:95], v[60:61]
	v_add_f64 v[98:99], v[118:119], -v[90:91]
	v_add_f64 v[100:101], v[124:125], -v[130:131]
	v_fmac_f64_e32 v[60:61], s[6:7], v[94:95]
	v_add_f64 v[94:95], v[128:129], v[132:133]
	v_fmac_f64_e32 v[96:97], s[0:1], v[86:87]
	v_add_f64 v[98:99], v[98:99], v[100:101]
	v_fmac_f64_e32 v[60:61], s[20:21], v[86:87]
	v_fma_f64 v[94:95], -0.5, v[94:95], v[62:63]
	v_add_f64 v[100:101], v[90:91], -v[130:131]
	v_fmac_f64_e32 v[96:97], s[16:17], v[98:99]
	v_fmac_f64_e32 v[60:61], s[16:17], v[98:99]
	v_fma_f64 v[90:91], s[18:19], v[100:101], v[94:95]
	v_add_f64 v[102:103], v[118:119], -v[124:125]
	v_add_f64 v[98:99], v[122:123], -v[128:129]
	;; [unrolled: 1-line block ×3, first 2 shown]
	v_fmac_f64_e32 v[94:95], s[6:7], v[100:101]
	v_fmac_f64_e32 v[90:91], s[20:21], v[102:103]
	v_add_f64 v[98:99], v[98:99], v[104:105]
	v_fmac_f64_e32 v[94:95], s[0:1], v[102:103]
	v_fmac_f64_e32 v[90:91], s[16:17], v[98:99]
	;; [unrolled: 1-line block ×3, first 2 shown]
	v_add_f64 v[98:99], v[122:123], v[136:137]
	v_add_f64 v[86:87], v[62:63], v[122:123]
	v_fmac_f64_e32 v[62:63], -0.5, v[98:99]
	v_add_f64 v[84:85], v[84:85], v[118:119]
	v_add_f64 v[86:87], v[86:87], v[128:129]
	v_fma_f64 v[98:99], s[6:7], v[102:103], v[62:63]
	v_add_f64 v[104:105], v[128:129], -v[122:123]
	v_add_f64 v[106:107], v[132:133], -v[136:137]
	v_fmac_f64_e32 v[62:63], s[18:19], v[102:103]
	v_add_f64 v[84:85], v[84:85], v[124:125]
	v_add_f64 v[86:87], v[86:87], v[132:133]
	v_fmac_f64_e32 v[98:99], s[20:21], v[100:101]
	v_add_f64 v[104:105], v[104:105], v[106:107]
	v_fmac_f64_e32 v[62:63], s[0:1], v[100:101]
	v_fmac_f64_e32 v[76:77], s[16:17], v[108:109]
	;; [unrolled: 1-line block ×3, first 2 shown]
	v_add_f64 v[84:85], v[84:85], v[130:131]
	v_add_f64 v[86:87], v[86:87], v[136:137]
	v_fmac_f64_e32 v[98:99], s[16:17], v[104:105]
	v_fmac_f64_e32 v[62:63], s[16:17], v[104:105]
	ds_write_b128 v112, v[72:75]
	ds_write_b128 v112, v[68:71] offset:1232
	ds_write_b128 v112, v[76:79] offset:2464
	;; [unrolled: 1-line block ×4, first 2 shown]
	s_and_saveexec_b64 s[0:1], s[2:3]
	s_cbranch_execz .LBB0_11
; %bb.10:
	ds_write_b128 v112, v[84:87] offset:880
	ds_write_b128 v112, v[88:91] offset:2112
	;; [unrolled: 1-line block ×5, first 2 shown]
.LBB0_11:
	s_or_b64 exec, exec, s[0:1]
	s_waitcnt lgkmcnt(0)
	; wave barrier
	s_waitcnt lgkmcnt(0)
	s_and_saveexec_b64 s[6:7], s[4:5]
	s_cbranch_execz .LBB0_13
; %bb.12:
	v_mov_b32_e32 v20, v113
	v_mov_b32_e32 v113, 0
	v_lshl_add_u64 v[118:119], s[12:13], 0, v[112:113]
	s_mov_b64 s[0:1], 0x1810
	v_lshl_add_u64 v[120:121], v[118:119], 0, s[0:1]
	s_movk_i32 s0, 0x2000
	v_add_co_u32_e32 v122, vcc, 0x1000, v118
	v_add_co_u32_e64 v148, s[0:1], s0, v118
	global_load_dwordx4 v[100:103], v[120:121], off offset:560
	global_load_dwordx4 v[104:107], v[120:121], off offset:1120
	;; [unrolled: 1-line block ×6, first 2 shown]
	v_addc_co_u32_e64 v149, s[0:1], 0, v119, s[0:1]
	v_addc_co_u32_e32 v123, vcc, 0, v119, vcc
	global_load_dwordx4 v[136:139], v[148:149], off offset:2448
	global_load_dwordx4 v[140:143], v[148:149], off offset:3008
	;; [unrolled: 1-line block ×3, first 2 shown]
	s_nop 0
	global_load_dwordx4 v[118:121], v[120:121], off offset:3920
	s_nop 0
	global_load_dwordx4 v[148:151], v[148:149], off offset:3568
	ds_read_b128 v[152:155], v112
	ds_read_b128 v[156:159], v112 offset:560
	ds_read_b128 v[160:163], v112 offset:1120
	;; [unrolled: 1-line block ×10, first 2 shown]
	v_mov_b32_e32 v113, v20
	s_waitcnt vmcnt(10) lgkmcnt(9)
	v_mul_f64 v[196:197], v[158:159], v[102:103]
	v_mul_f64 v[198:199], v[156:157], v[102:103]
	s_waitcnt vmcnt(9) lgkmcnt(8)
	v_mul_f64 v[200:201], v[162:163], v[106:107]
	v_mul_f64 v[102:103], v[160:161], v[106:107]
	;; [unrolled: 3-line block ×6, first 2 shown]
	v_fma_f64 v[196:197], v[156:157], v[100:101], -v[196:197]
	v_fmac_f64_e32 v[198:199], v[158:159], v[100:101]
	v_fma_f64 v[100:101], v[160:161], v[104:105], -v[200:201]
	v_fmac_f64_e32 v[102:103], v[162:163], v[104:105]
	s_waitcnt vmcnt(4) lgkmcnt(2)
	v_mul_f64 v[210:211], v[186:187], v[138:139]
	v_mul_f64 v[122:123], v[184:185], v[138:139]
	v_fma_f64 v[104:105], v[164:165], v[108:109], -v[202:203]
	v_fmac_f64_e32 v[106:107], v[166:167], v[108:109]
	v_fma_f64 v[108:109], v[168:169], v[124:125], -v[204:205]
	v_fmac_f64_e32 v[110:111], v[170:171], v[124:125]
	;; [unrolled: 2-line block ×4, first 2 shown]
	ds_write_b128 v112, v[196:199] offset:560
	ds_write_b128 v112, v[100:103] offset:1120
	ds_write_b128 v112, v[104:107] offset:1680
	ds_write_b128 v112, v[108:111] offset:2240
	ds_write_b128 v112, v[124:127] offset:2800
	ds_write_b128 v112, v[128:131] offset:3360
	s_waitcnt vmcnt(0) lgkmcnt(6)
	v_mul_f64 v[100:101], v[194:195], v[150:151]
	v_mul_f64 v[102:103], v[192:193], v[150:151]
	;; [unrolled: 1-line block ×8, first 2 shown]
	v_fma_f64 v[120:121], v[184:185], v[136:137], -v[210:211]
	v_fmac_f64_e32 v[122:123], v[186:187], v[136:137]
	v_fma_f64 v[100:101], v[192:193], v[148:149], -v[100:101]
	v_fmac_f64_e32 v[102:103], v[194:195], v[148:149]
	;; [unrolled: 2-line block ×5, first 2 shown]
	ds_write_b128 v112, v[120:123] offset:4480
	ds_write_b128 v112, v[132:135] offset:5040
	ds_write_b128 v112, v[136:139]
	ds_write_b128 v112, v[140:143] offset:3920
	ds_write_b128 v112, v[100:103] offset:5600
.LBB0_13:
	s_or_b64 exec, exec, s[6:7]
	s_waitcnt lgkmcnt(0)
	; wave barrier
	s_waitcnt lgkmcnt(0)
	s_and_saveexec_b64 s[0:1], s[4:5]
	s_cbranch_execz .LBB0_15
; %bb.14:
	ds_read_b128 v[72:75], v112
	ds_read_b128 v[68:71], v112 offset:560
	ds_read_b128 v[76:79], v112 offset:1120
	;; [unrolled: 1-line block ×10, first 2 shown]
.LBB0_15:
	s_or_b64 exec, exec, s[0:1]
	s_mov_b32 s16, 0x8eee2c13
	s_waitcnt lgkmcnt(0)
	v_add_f64 v[122:123], v[70:71], -v[2:3]
	s_mov_b32 s0, 0xd9c712b6
	s_mov_b32 s17, 0xbfed1bb4
	;; [unrolled: 1-line block ×3, first 2 shown]
	v_add_f64 v[118:119], v[68:69], v[0:1]
	v_add_f64 v[120:121], v[70:71], v[2:3]
	s_mov_b32 s1, 0x3fda9628
	v_mul_f64 v[20:21], v[122:123], s[16:17]
	s_mov_b32 s20, 0x43842ef
	s_mov_b32 s18, 0x7f775887
	;; [unrolled: 1-line block ×3, first 2 shown]
	v_add_f64 v[132:133], v[78:79], -v[94:95]
	v_add_f64 v[124:125], v[68:69], -v[0:1]
	v_mul_f64 v[134:135], v[120:121], s[0:1]
	v_fma_f64 v[100:101], v[118:119], s[0:1], -v[20:21]
	s_mov_b32 s6, 0x640f44db
	s_mov_b32 s21, 0xbfefac9e
	;; [unrolled: 1-line block ×3, first 2 shown]
	v_add_f64 v[126:127], v[76:77], v[92:93]
	v_add_f64 v[128:129], v[78:79], v[94:95]
	v_mul_f64 v[144:145], v[132:133], s[24:25]
	s_mov_b32 s38, 0xfd768dbf
	v_add_f64 v[100:101], v[72:73], v[100:101]
	v_fma_f64 v[102:103], s[16:17], v[124:125], v[134:135]
	s_mov_b32 s7, 0xbfc2375f
	v_mul_f64 v[142:143], v[122:123], s[20:21]
	v_add_f64 v[138:139], v[76:77], -v[92:93]
	v_mul_f64 v[152:153], v[128:129], s[18:19]
	v_fma_f64 v[136:137], v[126:127], s[18:19], -v[144:145]
	s_mov_b32 s22, 0x9bcd5057
	s_mov_b32 s39, 0x3fd207e7
	v_add_f64 v[102:103], v[74:75], v[102:103]
	v_mul_f64 v[150:151], v[120:121], s[6:7]
	v_fma_f64 v[104:105], v[118:119], s[6:7], -v[142:143]
	v_add_f64 v[100:101], v[136:137], v[100:101]
	v_fma_f64 v[136:137], s[24:25], v[138:139], v[152:153]
	s_mov_b32 s23, 0xbfeeb42a
	v_mul_f64 v[164:165], v[132:133], s[38:39]
	v_add_f64 v[104:105], v[72:73], v[104:105]
	v_fma_f64 v[106:107], s[20:21], v[124:125], v[150:151]
	v_mul_f64 v[162:163], v[122:123], s[24:25]
	v_add_f64 v[102:103], v[136:137], v[102:103]
	v_mul_f64 v[174:175], v[128:129], s[22:23]
	v_fma_f64 v[136:137], v[126:127], s[22:23], -v[164:165]
	s_mov_b32 s40, s20
	v_add_f64 v[106:107], v[74:75], v[106:107]
	v_mul_f64 v[172:173], v[120:121], s[18:19]
	v_fma_f64 v[108:109], v[118:119], s[18:19], -v[162:163]
	v_add_f64 v[104:105], v[136:137], v[104:105]
	v_fma_f64 v[136:137], s[38:39], v[138:139], v[174:175]
	v_mul_f64 v[184:185], v[132:133], s[40:41]
	v_add_f64 v[108:109], v[72:73], v[108:109]
	v_fma_f64 v[110:111], s[24:25], v[124:125], v[172:173]
	v_add_f64 v[106:107], v[136:137], v[106:107]
	v_mul_f64 v[192:193], v[128:129], s[6:7]
	v_fma_f64 v[136:137], v[126:127], s[6:7], -v[184:185]
	v_add_f64 v[110:111], v[74:75], v[110:111]
	v_add_f64 v[108:109], v[136:137], v[108:109]
	v_fma_f64 v[136:137], s[40:41], v[138:139], v[192:193]
	v_add_f64 v[146:147], v[66:67], -v[62:63]
	v_add_f64 v[110:111], v[136:137], v[110:111]
	v_add_f64 v[136:137], v[64:65], v[60:61]
	;; [unrolled: 1-line block ×3, first 2 shown]
	v_mul_f64 v[160:161], v[146:147], s[38:39]
	v_add_f64 v[154:155], v[64:65], -v[60:61]
	v_mul_f64 v[168:169], v[140:141], s[22:23]
	v_fma_f64 v[148:149], v[136:137], s[22:23], -v[160:161]
	s_mov_b32 s37, 0x3fed1bb4
	s_mov_b32 s36, s16
	v_add_f64 v[100:101], v[148:149], v[100:101]
	v_fma_f64 v[148:149], s[38:39], v[154:155], v[168:169]
	v_mul_f64 v[180:181], v[146:147], s[36:37]
	s_mov_b32 s30, 0xf8bb580b
	v_add_f64 v[102:103], v[148:149], v[102:103]
	v_mul_f64 v[186:187], v[140:141], s[0:1]
	v_fma_f64 v[148:149], v[136:137], s[0:1], -v[180:181]
	s_mov_b32 s28, 0x8764f0ba
	s_mov_b32 s31, 0xbfe14ced
	v_add_f64 v[104:105], v[148:149], v[104:105]
	v_fma_f64 v[148:149], s[36:37], v[154:155], v[186:187]
	s_mov_b32 s29, 0x3feaeb8c
	v_mul_f64 v[198:199], v[146:147], s[30:31]
	v_add_f64 v[106:107], v[148:149], v[106:107]
	v_mul_f64 v[204:205], v[140:141], s[28:29]
	v_fma_f64 v[148:149], v[136:137], s[28:29], -v[198:199]
	v_add_f64 v[108:109], v[148:149], v[108:109]
	v_fma_f64 v[148:149], s[30:31], v[154:155], v[204:205]
	v_add_f64 v[166:167], v[82:83], -v[98:99]
	v_add_f64 v[110:111], v[148:149], v[110:111]
	v_add_f64 v[148:149], v[80:81], v[96:97]
	;; [unrolled: 1-line block ×3, first 2 shown]
	v_mul_f64 v[182:183], v[166:167], s[40:41]
	v_add_f64 v[176:177], v[80:81], -v[96:97]
	v_mul_f64 v[190:191], v[156:157], s[6:7]
	v_fma_f64 v[158:159], v[148:149], s[6:7], -v[182:183]
	v_add_f64 v[100:101], v[158:159], v[100:101]
	v_fma_f64 v[158:159], s[40:41], v[176:177], v[190:191]
	v_mul_f64 v[196:197], v[166:167], s[30:31]
	v_add_f64 v[102:103], v[158:159], v[102:103]
	v_mul_f64 v[202:203], v[156:157], s[28:29]
	v_fma_f64 v[158:159], v[148:149], s[28:29], -v[196:197]
	s_mov_b32 s35, 0xbfd207e7
	s_mov_b32 s34, s38
	v_add_f64 v[104:105], v[158:159], v[104:105]
	v_fma_f64 v[158:159], s[30:31], v[176:177], v[202:203]
	v_mul_f64 v[208:209], v[166:167], s[34:35]
	v_add_f64 v[106:107], v[158:159], v[106:107]
	v_mul_f64 v[212:213], v[156:157], s[22:23]
	v_fma_f64 v[158:159], v[148:149], s[22:23], -v[208:209]
	v_add_f64 v[178:179], v[86:87], -v[90:91]
	s_mov_b32 s43, 0x3fe14ced
	s_mov_b32 s42, s30
	v_add_f64 v[220:221], v[158:159], v[108:109]
	v_fma_f64 v[108:109], s[34:35], v[176:177], v[212:213]
	v_add_f64 v[158:159], v[84:85], v[88:89]
	v_add_f64 v[170:171], v[86:87], v[90:91]
	v_mul_f64 v[194:195], v[178:179], s[42:43]
	v_add_f64 v[222:223], v[108:109], v[110:111]
	v_add_f64 v[188:189], v[84:85], -v[88:89]
	v_mul_f64 v[200:201], v[170:171], s[28:29]
	v_fma_f64 v[108:109], v[158:159], s[28:29], -v[194:195]
	v_add_f64 v[100:101], v[108:109], v[100:101]
	v_fma_f64 v[108:109], s[42:43], v[188:189], v[200:201]
	v_mul_f64 v[206:207], v[178:179], s[24:25]
	v_add_f64 v[102:103], v[108:109], v[102:103]
	v_mul_f64 v[210:211], v[170:171], s[18:19]
	v_fma_f64 v[108:109], v[158:159], s[18:19], -v[206:207]
	v_add_f64 v[108:109], v[108:109], v[104:105]
	v_fma_f64 v[104:105], s[24:25], v[188:189], v[210:211]
	v_mul_f64 v[214:215], v[178:179], s[36:37]
	v_mul_f64 v[216:217], v[170:171], s[0:1]
	v_add_f64 v[110:111], v[104:105], v[106:107]
	v_fma_f64 v[104:105], v[158:159], s[0:1], -v[214:215]
	v_fma_f64 v[106:107], s[36:37], v[188:189], v[216:217]
	v_add_f64 v[104:105], v[104:105], v[220:221]
	v_add_f64 v[106:107], v[106:107], v[222:223]
	s_waitcnt lgkmcnt(0)
	; wave barrier
	s_and_saveexec_b64 s[26:27], s[4:5]
	s_cbranch_execz .LBB0_17
; %bb.16:
	v_mul_f64 v[22:23], v[118:119], s[0:1]
	v_accvgpr_write_b32 a20, v22
	v_accvgpr_write_b32 a21, v23
	v_mul_f64 v[22:23], v[124:125], s[16:17]
	v_accvgpr_write_b32 a25, v23
	v_accvgpr_write_b32 a24, v22
	;; [unrolled: 3-line block ×12, first 2 shown]
	v_mul_f64 v[244:245], v[124:125], s[34:35]
	v_accvgpr_write_b32 a42, v22
	v_mul_f64 v[22:23], v[158:159], s[28:29]
	v_accvgpr_write_b32 a4, v224
	v_accvgpr_write_b32 a13, v233
	;; [unrolled: 1-line block ×4, first 2 shown]
	v_mul_f64 v[232:233], v[138:139], s[42:43]
	v_fma_f64 v[234:235], s[22:23], v[120:121], v[244:245]
	v_fma_f64 v[244:245], v[120:121], s[22:23], -v[244:245]
	v_accvgpr_write_b32 a39, v23
	v_accvgpr_write_b32 a5, v225
	;; [unrolled: 1-line block ×4, first 2 shown]
	v_mul_f64 v[226:227], v[154:155], s[24:25]
	v_fma_f64 v[26:27], s[28:29], v[128:129], v[232:233]
	v_add_f64 v[234:235], v[74:75], v[234:235]
	v_fma_f64 v[232:233], v[128:129], s[28:29], -v[232:233]
	v_add_f64 v[244:245], v[74:75], v[244:245]
	v_accvgpr_write_b32 a38, v22
	v_mul_f64 v[22:23], v[188:189], s[42:43]
	v_mul_f64 v[224:225], v[176:177], s[36:37]
	v_fma_f64 v[130:131], s[18:19], v[140:141], v[226:227]
	v_add_f64 v[26:27], v[26:27], v[234:235]
	v_fma_f64 v[226:227], v[140:141], s[18:19], -v[226:227]
	v_add_f64 v[232:233], v[232:233], v[244:245]
	v_accvgpr_write_b32 a49, v23
	v_mul_f64 v[34:35], v[188:189], s[20:21]
	v_fma_f64 v[222:223], s[0:1], v[156:157], v[224:225]
	v_add_f64 v[26:27], v[130:131], v[26:27]
	v_accvgpr_write_b32 a0, v114
	v_mul_f64 v[114:115], v[122:123], s[34:35]
	v_fma_f64 v[224:225], v[156:157], s[0:1], -v[224:225]
	v_add_f64 v[226:227], v[226:227], v[232:233]
	v_accvgpr_write_b32 a48, v22
	v_fma_f64 v[220:221], s[6:7], v[170:171], v[34:35]
	v_add_f64 v[26:27], v[222:223], v[26:27]
	v_mul_f64 v[22:23], v[132:133], s[42:43]
	v_fma_f64 v[252:253], v[118:119], s[22:23], -v[114:115]
	v_fma_f64 v[34:35], v[170:171], s[6:7], -v[34:35]
	v_add_f64 v[224:225], v[224:225], v[226:227]
	v_fmac_f64_e32 v[114:115], s[22:23], v[118:119]
	v_add_f64 v[222:223], v[220:221], v[26:27]
	v_mul_f64 v[234:235], v[146:147], s[24:25]
	v_fma_f64 v[220:221], v[126:127], s[28:29], -v[22:23]
	v_add_f64 v[252:253], v[72:73], v[252:253]
	v_add_f64 v[226:227], v[34:35], v[224:225]
	v_fmac_f64_e32 v[22:23], s[28:29], v[126:127]
	v_add_f64 v[34:35], v[72:73], v[114:115]
	v_accvgpr_write_b32 a16, v236
	v_mul_f64 v[130:131], v[166:167], s[36:37]
	v_add_f64 v[220:221], v[220:221], v[252:253]
	v_fma_f64 v[252:253], v[136:137], s[18:19], -v[234:235]
	v_fmac_f64_e32 v[234:235], s[18:19], v[136:137]
	v_add_f64 v[22:23], v[22:23], v[34:35]
	v_accvgpr_write_b32 a17, v237
	v_accvgpr_write_b32 a18, v238
	;; [unrolled: 1-line block ×3, first 2 shown]
	v_mul_f64 v[238:239], v[124:125], s[24:25]
	v_mul_f64 v[26:27], v[178:179], s[20:21]
	v_add_f64 v[220:221], v[252:253], v[220:221]
	v_fma_f64 v[252:253], v[148:149], s[0:1], -v[130:131]
	v_fmac_f64_e32 v[130:131], s[0:1], v[148:149]
	v_add_f64 v[22:23], v[234:235], v[22:23]
	v_mul_f64 v[250:251], v[138:139], s[40:41]
	v_mul_f64 v[32:33], v[188:189], s[36:37]
	v_add_f64 v[220:221], v[252:253], v[220:221]
	v_fma_f64 v[252:253], v[158:159], s[6:7], -v[26:27]
	v_fmac_f64_e32 v[26:27], s[6:7], v[158:159]
	v_add_f64 v[22:23], v[130:131], v[22:23]
	v_add_f64 v[34:35], v[172:173], -v[238:239]
	v_mul_f64 v[24:25], v[154:155], s[30:31]
	v_add_f64 v[224:225], v[26:27], v[22:23]
	v_add_f64 v[22:23], v[216:217], -v[32:33]
	v_add_f64 v[32:33], v[192:193], -v[250:251]
	v_add_f64 v[34:35], v[74:75], v[34:35]
	v_mul_f64 v[242:243], v[176:177], s[34:35]
	v_add_f64 v[24:25], v[204:205], -v[24:25]
	v_add_f64 v[32:33], v[32:33], v[34:35]
	v_add_f64 v[26:27], v[212:213], -v[242:243]
	v_add_f64 v[24:25], v[24:25], v[32:33]
	v_mul_f64 v[236:237], v[118:119], s[18:19]
	v_mul_f64 v[30:31], v[158:159], s[0:1]
	v_add_f64 v[24:25], v[26:27], v[24:25]
	v_mul_f64 v[248:249], v[126:127], s[6:7]
	v_accvgpr_write_b32 a29, v21
	v_add_f64 v[216:217], v[22:23], v[24:25]
	v_add_f64 v[22:23], v[30:31], v[214:215]
	;; [unrolled: 1-line block ×3, first 2 shown]
	v_accvgpr_write_b32 a28, v20
	v_mul_f64 v[20:21], v[136:137], s[28:29]
	v_add_f64 v[26:27], v[248:249], v[184:185]
	v_add_f64 v[30:31], v[72:73], v[30:31]
	v_mul_f64 v[240:241], v[148:149], s[22:23]
	v_add_f64 v[20:21], v[20:21], v[198:199]
	v_add_f64 v[26:27], v[26:27], v[30:31]
	;; [unrolled: 1-line block ×4, first 2 shown]
	v_mul_f64 v[28:29], v[188:189], s[24:25]
	v_add_f64 v[20:21], v[24:25], v[20:21]
	v_add_f64 v[214:215], v[22:23], v[20:21]
	v_add_f64 v[20:21], v[210:211], -v[28:29]
	v_accvgpr_read_b32 v28, a44
	v_accvgpr_read_b32 v29, a45
	v_mul_f64 v[246:247], v[138:139], s[38:39]
	v_add_f64 v[28:29], v[150:151], -v[28:29]
	v_accvgpr_write_b32 a2, v116
	v_mul_f64 v[116:117], v[154:155], s[36:37]
	v_accvgpr_write_b32 a8, v228
	v_add_f64 v[26:27], v[174:175], -v[246:247]
	v_add_f64 v[28:29], v[74:75], v[28:29]
	v_accvgpr_write_b32 a9, v229
	v_accvgpr_write_b32 a10, v230
	;; [unrolled: 1-line block ×3, first 2 shown]
	v_mul_f64 v[230:231], v[176:177], s[30:31]
	v_add_f64 v[24:25], v[186:187], -v[116:117]
	v_add_f64 v[26:27], v[26:27], v[28:29]
	v_accvgpr_read_b32 v28, a34
	v_add_f64 v[22:23], v[202:203], -v[230:231]
	v_add_f64 v[24:25], v[24:25], v[26:27]
	v_accvgpr_read_b32 v26, a40
	v_accvgpr_read_b32 v29, a35
	v_add_f64 v[22:23], v[22:23], v[24:25]
	v_accvgpr_read_b32 v24, a46
	v_accvgpr_read_b32 v27, a41
	v_add_f64 v[28:29], v[28:29], v[142:143]
	v_accvgpr_read_b32 v25, a47
	v_add_f64 v[26:27], v[26:27], v[164:165]
	v_add_f64 v[28:29], v[72:73], v[28:29]
	v_mul_f64 v[228:229], v[148:149], s[28:29]
	v_add_f64 v[24:25], v[24:25], v[180:181]
	v_add_f64 v[26:27], v[26:27], v[28:29]
	v_accvgpr_read_b32 v29, a25
	v_mul_f64 v[254:255], v[158:159], s[18:19]
	v_add_f64 v[174:175], v[20:21], v[22:23]
	v_add_f64 v[22:23], v[228:229], v[196:197]
	;; [unrolled: 1-line block ×3, first 2 shown]
	v_accvgpr_read_b32 v26, a30
	v_accvgpr_read_b32 v28, a24
	v_add_f64 v[20:21], v[254:255], v[206:207]
	v_add_f64 v[22:23], v[22:23], v[24:25]
	v_accvgpr_read_b32 v24, a36
	v_accvgpr_read_b32 v27, a31
	v_add_f64 v[28:29], v[134:135], -v[28:29]
	v_add_f64 v[172:173], v[20:21], v[22:23]
	v_accvgpr_read_b32 v22, a42
	v_accvgpr_read_b32 v25, a37
	v_add_f64 v[26:27], v[152:153], -v[26:27]
	;; [unrolled: 4-line block ×3, first 2 shown]
	v_add_f64 v[26:27], v[26:27], v[28:29]
	v_accvgpr_read_b32 v29, a21
	v_accvgpr_read_b32 v31, a29
	;; [unrolled: 1-line block ×3, first 2 shown]
	v_add_f64 v[22:23], v[190:191], -v[22:23]
	v_add_f64 v[24:25], v[24:25], v[26:27]
	v_accvgpr_read_b32 v27, a23
	v_accvgpr_read_b32 v28, a20
	;; [unrolled: 1-line block ×3, first 2 shown]
	v_add_f64 v[20:21], v[200:201], -v[20:21]
	v_add_f64 v[22:23], v[22:23], v[24:25]
	v_accvgpr_read_b32 v24, a26
	v_accvgpr_read_b32 v26, a22
	v_add_f64 v[28:29], v[28:29], v[30:31]
	v_add_f64 v[152:153], v[20:21], v[22:23]
	v_accvgpr_read_b32 v22, a32
	v_accvgpr_read_b32 v25, a27
	v_add_f64 v[26:27], v[26:27], v[144:145]
	v_add_f64 v[28:29], v[72:73], v[28:29]
	v_mul_f64 v[114:115], v[124:125], s[30:31]
	v_accvgpr_read_b32 v20, a38
	v_accvgpr_read_b32 v23, a33
	v_add_f64 v[24:25], v[24:25], v[160:161]
	v_add_f64 v[26:27], v[26:27], v[28:29]
	v_mul_f64 v[32:33], v[138:139], s[16:17]
	v_fma_f64 v[116:117], s[28:29], v[120:121], v[114:115]
	v_accvgpr_read_b32 v21, a39
	v_add_f64 v[22:23], v[22:23], v[182:183]
	v_add_f64 v[24:25], v[24:25], v[26:27]
	v_mul_f64 v[28:29], v[154:155], s[20:21]
	v_fma_f64 v[34:35], s[0:1], v[128:129], v[32:33]
	v_add_f64 v[116:117], v[74:75], v[116:117]
	v_mul_f64 v[138:139], v[122:123], s[30:31]
	v_add_f64 v[20:21], v[20:21], v[194:195]
	v_add_f64 v[22:23], v[22:23], v[24:25]
	v_mul_f64 v[24:25], v[176:177], s[24:25]
	v_fma_f64 v[30:31], s[6:7], v[140:141], v[28:29]
	v_add_f64 v[34:35], v[34:35], v[116:117]
	v_mul_f64 v[132:133], v[132:133], s[16:17]
	v_fma_f64 v[122:123], v[118:119], s[28:29], -v[138:139]
	v_add_f64 v[150:151], v[20:21], v[22:23]
	v_mul_f64 v[20:21], v[188:189], s[34:35]
	v_fma_f64 v[26:27], s[18:19], v[156:157], v[24:25]
	v_add_f64 v[30:31], v[30:31], v[34:35]
	v_mul_f64 v[116:117], v[146:147], s[20:21]
	v_fma_f64 v[134:135], v[126:127], s[0:1], -v[132:133]
	v_add_f64 v[122:123], v[72:73], v[122:123]
	v_fma_f64 v[22:23], s[22:23], v[170:171], v[20:21]
	v_add_f64 v[26:27], v[26:27], v[30:31]
	v_mul_f64 v[30:31], v[166:167], s[24:25]
	v_fma_f64 v[130:131], v[136:137], s[6:7], -v[116:117]
	v_add_f64 v[122:123], v[134:135], v[122:123]
	v_add_f64 v[124:125], v[22:23], v[26:27]
	v_mul_f64 v[22:23], v[178:179], s[34:35]
	v_fma_f64 v[34:35], v[148:149], s[18:19], -v[30:31]
	v_add_f64 v[122:123], v[130:131], v[122:123]
	v_fma_f64 v[26:27], v[158:159], s[22:23], -v[22:23]
	v_add_f64 v[34:35], v[34:35], v[122:123]
	v_add_f64 v[122:123], v[26:27], v[34:35]
	v_fma_f64 v[26:27], v[140:141], s[6:7], -v[28:29]
	v_fma_f64 v[28:29], v[128:129], s[0:1], -v[32:33]
	;; [unrolled: 1-line block ×3, first 2 shown]
	v_add_f64 v[32:33], v[74:75], v[32:33]
	v_add_f64 v[28:29], v[28:29], v[32:33]
	v_fma_f64 v[24:25], v[156:157], s[18:19], -v[24:25]
	v_add_f64 v[26:27], v[26:27], v[28:29]
	v_fma_f64 v[20:21], v[170:171], s[22:23], -v[20:21]
	v_add_f64 v[24:25], v[24:25], v[26:27]
	v_fmac_f64_e32 v[138:139], s[28:29], v[118:119]
	v_add_f64 v[120:121], v[20:21], v[24:25]
	v_fmac_f64_e32 v[132:133], s[0:1], v[126:127]
	;; [unrolled: 2-line block ×5, first 2 shown]
	v_add_f64 v[20:21], v[30:31], v[20:21]
	v_add_f64 v[118:119], v[22:23], v[20:21]
	v_add_f64 v[20:21], v[74:75], v[70:71]
	v_add_f64 v[20:21], v[20:21], v[78:79]
	v_add_f64 v[20:21], v[20:21], v[66:67]
	v_add_f64 v[20:21], v[20:21], v[82:83]
	v_add_f64 v[20:21], v[20:21], v[86:87]
	v_add_f64 v[20:21], v[20:21], v[90:91]
	v_add_f64 v[20:21], v[20:21], v[98:99]
	v_add_f64 v[20:21], v[20:21], v[62:63]
	v_add_f64 v[20:21], v[20:21], v[94:95]
	v_add_f64 v[2:3], v[20:21], v[2:3]
	v_add_f64 v[20:21], v[72:73], v[68:69]
	v_add_f64 v[20:21], v[20:21], v[76:77]
	v_add_f64 v[20:21], v[20:21], v[64:65]
	v_add_f64 v[20:21], v[20:21], v[80:81]
	v_add_f64 v[20:21], v[20:21], v[84:85]
	v_add_f64 v[20:21], v[20:21], v[88:89]
	v_add_f64 v[20:21], v[20:21], v[96:97]
	v_add_f64 v[20:21], v[20:21], v[60:61]
	v_add_f64 v[20:21], v[20:21], v[92:93]
	v_add_f64 v[0:1], v[20:21], v[0:1]
	v_lshlrev_b32_e32 v20, 4, v113
	v_accvgpr_read_b32 v235, a15
	v_accvgpr_read_b32 v239, a19
	;; [unrolled: 1-line block ×3, first 2 shown]
	ds_write_b128 v20, v[0:3]
	ds_write_b128 v20, v[118:121] offset:16
	ds_write_b128 v20, v[150:153] offset:32
	;; [unrolled: 1-line block ×5, first 2 shown]
	v_accvgpr_read_b32 v227, a7
	v_add_f64 v[220:221], v[252:253], v[220:221]
	v_accvgpr_read_b32 v234, a14
	v_accvgpr_read_b32 v233, a13
	;; [unrolled: 1-line block ×14, first 2 shown]
	ds_write_b128 v20, v[220:223] offset:96
	ds_write_b128 v20, v[104:107] offset:112
	;; [unrolled: 1-line block ×5, first 2 shown]
.LBB0_17:
	s_or_b64 exec, exec, s[26:27]
	s_waitcnt lgkmcnt(0)
	; wave barrier
	s_waitcnt lgkmcnt(0)
	ds_read_b128 v[0:3], v112
	ds_read_b128 v[60:63], v112 offset:880
	ds_read_b128 v[64:67], v112 offset:1760
	ds_read_b128 v[68:71], v112 offset:2640
	ds_read_b128 v[72:75], v112 offset:3520
	ds_read_b128 v[76:79], v112 offset:4400
	ds_read_b128 v[80:83], v112 offset:5280
	s_waitcnt lgkmcnt(5)
	v_mul_f64 v[20:21], v[18:19], v[62:63]
	v_mul_f64 v[18:19], v[18:19], v[60:61]
	v_fmac_f64_e32 v[20:21], v[16:17], v[60:61]
	v_fma_f64 v[16:17], v[16:17], v[62:63], -v[18:19]
	s_waitcnt lgkmcnt(4)
	v_mul_f64 v[18:19], v[14:15], v[66:67]
	v_mul_f64 v[14:15], v[14:15], v[64:65]
	v_fmac_f64_e32 v[18:19], v[12:13], v[64:65]
	v_fma_f64 v[12:13], v[12:13], v[66:67], -v[14:15]
	s_waitcnt lgkmcnt(3)
	v_mul_f64 v[14:15], v[10:11], v[70:71]
	v_mul_f64 v[10:11], v[10:11], v[68:69]
	v_fmac_f64_e32 v[14:15], v[8:9], v[68:69]
	v_fma_f64 v[8:9], v[8:9], v[70:71], -v[10:11]
	s_waitcnt lgkmcnt(2)
	v_mul_f64 v[10:11], v[6:7], v[74:75]
	v_mul_f64 v[6:7], v[6:7], v[72:73]
	v_fmac_f64_e32 v[10:11], v[4:5], v[72:73]
	v_fma_f64 v[4:5], v[4:5], v[74:75], -v[6:7]
	s_waitcnt lgkmcnt(1)
	v_mul_f64 v[6:7], v[42:43], v[78:79]
	s_waitcnt lgkmcnt(0)
	v_mul_f64 v[24:25], v[38:39], v[82:83]
	v_fmac_f64_e32 v[6:7], v[40:41], v[76:77]
	v_mul_f64 v[22:23], v[42:43], v[76:77]
	v_fmac_f64_e32 v[24:25], v[36:37], v[80:81]
	v_mul_f64 v[26:27], v[38:39], v[80:81]
	v_fma_f64 v[22:23], v[40:41], v[78:79], -v[22:23]
	v_fma_f64 v[26:27], v[36:37], v[82:83], -v[26:27]
	v_add_f64 v[28:29], v[20:21], v[24:25]
	v_add_f64 v[20:21], v[20:21], -v[24:25]
	v_add_f64 v[24:25], v[18:19], v[6:7]
	v_add_f64 v[30:31], v[16:17], v[26:27]
	v_add_f64 v[16:17], v[16:17], -v[26:27]
	v_add_f64 v[26:27], v[12:13], v[22:23]
	v_add_f64 v[6:7], v[18:19], -v[6:7]
	v_add_f64 v[12:13], v[12:13], -v[22:23]
	v_add_f64 v[18:19], v[14:15], v[10:11]
	v_add_f64 v[22:23], v[8:9], v[4:5]
	v_add_f64 v[4:5], v[4:5], -v[8:9]
	v_add_f64 v[8:9], v[24:25], v[28:29]
	v_add_f64 v[10:11], v[10:11], -v[14:15]
	v_add_f64 v[14:15], v[26:27], v[30:31]
	v_add_f64 v[32:33], v[24:25], -v[28:29]
	v_add_f64 v[28:29], v[28:29], -v[18:19]
	v_add_f64 v[24:25], v[18:19], -v[24:25]
	v_add_f64 v[18:19], v[18:19], v[8:9]
	s_mov_b32 s0, 0x37e14327
	s_mov_b32 s6, 0xe976ee23
	v_add_f64 v[34:35], v[26:27], -v[30:31]
	v_add_f64 v[30:31], v[30:31], -v[22:23]
	;; [unrolled: 1-line block ×3, first 2 shown]
	v_add_f64 v[14:15], v[22:23], v[14:15]
	v_add_f64 v[8:9], v[0:1], v[18:19]
	s_mov_b32 s1, 0x3fe948f6
	s_mov_b32 s7, 0x3fe11646
	;; [unrolled: 1-line block ×3, first 2 shown]
	v_add_f64 v[36:37], v[10:11], v[6:7]
	v_add_f64 v[60:61], v[20:21], -v[10:11]
	v_add_f64 v[10:11], v[2:3], v[14:15]
	v_mul_f64 v[0:1], v[28:29], s[0:1]
	v_mul_f64 v[2:3], v[30:31], s[0:1]
	s_mov_b32 s0, 0x36b3c0b5
	v_mul_f64 v[30:31], v[40:41], s[6:7]
	s_mov_b32 s17, 0xbff2aaaa
	v_mov_b64_e32 v[40:41], v[8:9]
	v_add_f64 v[26:27], v[22:23], -v[26:27]
	s_mov_b32 s1, 0x3fac98ee
	v_fmac_f64_e32 v[40:41], s[16:17], v[18:19]
	v_mov_b64_e32 v[18:19], v[10:11]
	v_add_f64 v[42:43], v[4:5], -v[12:13]
	v_mul_f64 v[22:23], v[24:25], s[0:1]
	v_mul_f64 v[28:29], v[26:27], s[0:1]
	v_fmac_f64_e32 v[18:19], s[16:17], v[14:15]
	s_mov_b32 s17, 0x3fe77f67
	s_mov_b32 s16, 0x5476071b
	v_mul_f64 v[62:63], v[42:43], s[6:7]
	s_mov_b32 s6, 0x429ad128
	v_fma_f64 v[14:15], s[0:1], v[24:25], v[0:1]
	v_fma_f64 v[22:23], v[32:33], s[16:17], -v[22:23]
	v_fma_f64 v[24:25], v[34:35], s[16:17], -v[28:29]
	s_mov_b32 s17, 0xbfe77f67
	v_add_f64 v[38:39], v[4:5], v[12:13]
	v_add_f64 v[4:5], v[16:17], -v[4:5]
	v_add_f64 v[6:7], v[6:7], -v[20:21]
	;; [unrolled: 1-line block ×3, first 2 shown]
	s_mov_b32 s7, 0xbfebfeb5
	v_fma_f64 v[28:29], v[34:35], s[16:17], -v[2:3]
	v_fmac_f64_e32 v[2:3], s[0:1], v[26:27]
	s_mov_b32 s1, 0xbfd5d0dc
	s_mov_b32 s0, 0xb247c609
	v_add_f64 v[20:21], v[36:37], v[20:21]
	v_add_f64 v[16:17], v[38:39], v[16:17]
	v_mul_f64 v[36:37], v[6:7], s[6:7]
	v_mul_f64 v[38:39], v[12:13], s[6:7]
	v_fma_f64 v[26:27], s[0:1], v[60:61], v[30:31]
	v_fma_f64 v[6:7], v[6:7], s[6:7], -v[30:31]
	v_fma_f64 v[30:31], v[12:13], s[6:7], -v[62:63]
	v_fmac_f64_e32 v[62:63], s[0:1], v[4:5]
	s_mov_b32 s1, 0x3fd5d0dc
	v_fma_f64 v[0:1], v[32:33], s[16:17], -v[0:1]
	v_fma_f64 v[32:33], v[60:61], s[0:1], -v[36:37]
	;; [unrolled: 1-line block ×3, first 2 shown]
	s_mov_b32 s0, 0x37c3f68c
	s_mov_b32 s1, 0xbfdc38aa
	v_add_f64 v[34:35], v[14:15], v[40:41]
	v_add_f64 v[60:61], v[2:3], v[18:19]
	;; [unrolled: 1-line block ×6, first 2 shown]
	v_fmac_f64_e32 v[26:27], s[0:1], v[20:21]
	v_fmac_f64_e32 v[62:63], s[0:1], v[16:17]
	;; [unrolled: 1-line block ×6, first 2 shown]
	v_add_f64 v[12:13], v[62:63], v[34:35]
	v_add_f64 v[14:15], v[60:61], -v[26:27]
	v_add_f64 v[16:17], v[4:5], v[0:1]
	v_add_f64 v[18:19], v[24:25], -v[32:33]
	v_add_f64 v[36:37], v[2:3], -v[30:31]
	v_add_f64 v[38:39], v[6:7], v[22:23]
	v_add_f64 v[40:41], v[30:31], v[2:3]
	v_add_f64 v[42:43], v[22:23], -v[6:7]
	v_add_f64 v[0:1], v[0:1], -v[4:5]
	v_add_f64 v[2:3], v[32:33], v[24:25]
	v_add_f64 v[4:5], v[34:35], -v[62:63]
	v_add_f64 v[6:7], v[26:27], v[60:61]
	s_waitcnt lgkmcnt(0)
	; wave barrier
	ds_write_b128 v218, v[8:11]
	ds_write_b128 v218, v[12:15] offset:176
	ds_write_b128 v218, v[16:19] offset:352
	;; [unrolled: 1-line block ×6, first 2 shown]
	s_waitcnt lgkmcnt(0)
	; wave barrier
	s_waitcnt lgkmcnt(0)
	ds_read_b128 v[8:11], v112
	ds_read_b128 v[40:43], v112 offset:1232
	ds_read_b128 v[36:39], v112 offset:2464
	;; [unrolled: 1-line block ×4, first 2 shown]
	s_and_saveexec_b64 s[0:1], s[2:3]
	s_cbranch_execz .LBB0_19
; %bb.18:
	ds_read_b128 v[0:3], v112 offset:880
	ds_read_b128 v[4:7], v112 offset:2112
	;; [unrolled: 1-line block ×5, first 2 shown]
.LBB0_19:
	s_or_b64 exec, exec, s[0:1]
	s_waitcnt lgkmcnt(2)
	v_mul_f64 v[24:25], v[54:55], v[38:39]
	s_waitcnt lgkmcnt(1)
	v_mul_f64 v[28:29], v[50:51], v[18:19]
	;; [unrolled: 2-line block ×3, first 2 shown]
	v_mul_f64 v[22:23], v[58:59], v[40:41]
	v_fmac_f64_e32 v[24:25], v[52:53], v[36:37]
	v_fmac_f64_e32 v[28:29], v[48:49], v[16:17]
	;; [unrolled: 1-line block ×3, first 2 shown]
	v_mul_f64 v[12:13], v[46:47], v[12:13]
	v_mul_f64 v[20:21], v[58:59], v[42:43]
	v_fma_f64 v[22:23], v[56:57], v[42:43], -v[22:23]
	v_mul_f64 v[26:27], v[54:55], v[36:37]
	v_mul_f64 v[16:17], v[50:51], v[16:17]
	v_fma_f64 v[34:35], v[44:45], v[14:15], -v[12:13]
	v_add_f64 v[14:15], v[24:25], v[28:29]
	s_mov_b32 s0, 0x134454ff
	v_fmac_f64_e32 v[20:21], v[56:57], v[40:41]
	v_fma_f64 v[26:27], v[52:53], v[38:39], -v[26:27]
	v_fma_f64 v[30:31], v[48:49], v[18:19], -v[16:17]
	v_fma_f64 v[16:17], -0.5, v[14:15], v[8:9]
	v_add_f64 v[14:15], v[22:23], -v[34:35]
	s_mov_b32 s1, 0xbfee6f0e
	s_mov_b32 s6, 0x4755a5e
	s_mov_b32 s19, 0x3fee6f0e
	s_mov_b32 s18, s0
	v_fma_f64 v[36:37], s[0:1], v[14:15], v[16:17]
	v_add_f64 v[18:19], v[26:27], -v[30:31]
	s_mov_b32 s7, 0xbfe2cf23
	v_add_f64 v[38:39], v[20:21], -v[24:25]
	v_add_f64 v[40:41], v[32:33], -v[28:29]
	s_mov_b32 s16, 0x372fe950
	v_fmac_f64_e32 v[16:17], s[18:19], v[14:15]
	s_mov_b32 s21, 0x3fe2cf23
	s_mov_b32 s20, s6
	v_fmac_f64_e32 v[36:37], s[6:7], v[18:19]
	v_add_f64 v[38:39], v[38:39], v[40:41]
	s_mov_b32 s17, 0x3fd3c6ef
	v_fmac_f64_e32 v[16:17], s[20:21], v[18:19]
	v_fmac_f64_e32 v[36:37], s[16:17], v[38:39]
	;; [unrolled: 1-line block ×3, first 2 shown]
	v_add_f64 v[38:39], v[20:21], v[32:33]
	v_add_f64 v[12:13], v[8:9], v[20:21]
	v_fmac_f64_e32 v[8:9], -0.5, v[38:39]
	v_add_f64 v[12:13], v[12:13], v[24:25]
	v_fma_f64 v[40:41], s[18:19], v[18:19], v[8:9]
	v_add_f64 v[38:39], v[24:25], -v[20:21]
	v_add_f64 v[42:43], v[28:29], -v[32:33]
	v_fmac_f64_e32 v[8:9], s[0:1], v[18:19]
	v_add_f64 v[18:19], v[26:27], v[30:31]
	v_add_f64 v[12:13], v[12:13], v[28:29]
	v_fmac_f64_e32 v[40:41], s[6:7], v[14:15]
	v_add_f64 v[38:39], v[38:39], v[42:43]
	v_fmac_f64_e32 v[8:9], s[20:21], v[14:15]
	v_fma_f64 v[18:19], -0.5, v[18:19], v[10:11]
	v_add_f64 v[20:21], v[20:21], -v[32:33]
	v_add_f64 v[12:13], v[12:13], v[32:33]
	v_fmac_f64_e32 v[40:41], s[16:17], v[38:39]
	v_fmac_f64_e32 v[8:9], s[16:17], v[38:39]
	v_fma_f64 v[38:39], s[18:19], v[20:21], v[18:19]
	v_add_f64 v[24:25], v[24:25], -v[28:29]
	v_add_f64 v[28:29], v[22:23], -v[26:27]
	;; [unrolled: 1-line block ×3, first 2 shown]
	v_fmac_f64_e32 v[18:19], s[0:1], v[20:21]
	v_fmac_f64_e32 v[38:39], s[20:21], v[24:25]
	v_add_f64 v[28:29], v[28:29], v[32:33]
	v_fmac_f64_e32 v[18:19], s[6:7], v[24:25]
	v_add_f64 v[14:15], v[10:11], v[22:23]
	v_fmac_f64_e32 v[38:39], s[16:17], v[28:29]
	v_fmac_f64_e32 v[18:19], s[16:17], v[28:29]
	v_add_f64 v[28:29], v[22:23], v[34:35]
	v_add_f64 v[14:15], v[14:15], v[26:27]
	v_fmac_f64_e32 v[10:11], -0.5, v[28:29]
	v_add_f64 v[14:15], v[14:15], v[30:31]
	v_fma_f64 v[42:43], s[0:1], v[24:25], v[10:11]
	v_add_f64 v[22:23], v[26:27], -v[22:23]
	v_add_f64 v[26:27], v[30:31], -v[34:35]
	v_fmac_f64_e32 v[10:11], s[18:19], v[24:25]
	v_add_f64 v[14:15], v[14:15], v[34:35]
	v_fmac_f64_e32 v[42:43], s[20:21], v[20:21]
	v_add_f64 v[22:23], v[22:23], v[26:27]
	v_fmac_f64_e32 v[10:11], s[6:7], v[20:21]
	v_fmac_f64_e32 v[42:43], s[16:17], v[22:23]
	;; [unrolled: 1-line block ×3, first 2 shown]
	ds_write_b128 v112, v[12:15]
	ds_write_b128 v112, v[36:39] offset:1232
	ds_write_b128 v112, v[40:43] offset:2464
	ds_write_b128 v112, v[8:11] offset:3696
	ds_write_b128 v112, v[16:19] offset:4928
	s_and_saveexec_b64 s[22:23], s[2:3]
	s_cbranch_execz .LBB0_21
; %bb.20:
	v_mul_f64 v[8:9], v[238:239], v[104:105]
	v_mul_f64 v[12:13], v[234:235], v[108:109]
	v_fma_f64 v[10:11], v[236:237], v[106:107], -v[8:9]
	v_mul_f64 v[8:9], v[230:231], v[4:5]
	v_fma_f64 v[18:19], v[232:233], v[110:111], -v[12:13]
	;; [unrolled: 2-line block ×3, first 2 shown]
	v_fma_f64 v[22:23], v[224:225], v[102:103], -v[12:13]
	v_add_f64 v[8:9], v[10:11], -v[14:15]
	v_add_f64 v[12:13], v[18:19], -v[22:23]
	v_mul_f64 v[24:25], v[238:239], v[106:107]
	v_mul_f64 v[26:27], v[234:235], v[110:111]
	v_add_f64 v[16:17], v[8:9], v[12:13]
	v_fmac_f64_e32 v[24:25], v[236:237], v[104:105]
	v_fmac_f64_e32 v[26:27], v[232:233], v[108:109]
	v_add_f64 v[8:9], v[14:15], v[22:23]
	v_mul_f64 v[28:29], v[230:231], v[6:7]
	v_mul_f64 v[30:31], v[226:227], v[102:103]
	v_add_f64 v[20:21], v[24:25], -v[26:27]
	v_fma_f64 v[8:9], -0.5, v[8:9], v[2:3]
	v_fmac_f64_e32 v[28:29], v[228:229], v[4:5]
	v_fmac_f64_e32 v[30:31], v[224:225], v[100:101]
	v_fma_f64 v[12:13], s[18:19], v[20:21], v[8:9]
	v_add_f64 v[6:7], v[28:29], -v[30:31]
	v_fmac_f64_e32 v[8:9], s[0:1], v[20:21]
	v_fmac_f64_e32 v[12:13], s[6:7], v[6:7]
	;; [unrolled: 1-line block ×5, first 2 shown]
	v_add_f64 v[4:5], v[14:15], -v[10:11]
	v_add_f64 v[16:17], v[22:23], -v[18:19]
	v_add_f64 v[32:33], v[4:5], v[16:17]
	v_add_f64 v[4:5], v[10:11], v[18:19]
	v_fma_f64 v[4:5], -0.5, v[4:5], v[2:3]
	v_add_f64 v[2:3], v[2:3], v[14:15]
	v_add_f64 v[2:3], v[2:3], v[10:11]
	v_fma_f64 v[16:17], s[0:1], v[6:7], v[4:5]
	v_fmac_f64_e32 v[4:5], s[18:19], v[6:7]
	v_add_f64 v[2:3], v[2:3], v[18:19]
	v_fmac_f64_e32 v[16:17], s[6:7], v[20:21]
	v_fmac_f64_e32 v[4:5], s[20:21], v[20:21]
	v_add_f64 v[20:21], v[2:3], v[22:23]
	v_add_f64 v[2:3], v[24:25], -v[28:29]
	v_add_f64 v[6:7], v[26:27], -v[30:31]
	v_add_f64 v[2:3], v[2:3], v[6:7]
	v_add_f64 v[6:7], v[28:29], v[30:31]
	v_fma_f64 v[6:7], -0.5, v[6:7], v[0:1]
	v_add_f64 v[18:19], v[10:11], -v[18:19]
	v_add_f64 v[22:23], v[14:15], -v[22:23]
	v_fma_f64 v[10:11], s[0:1], v[18:19], v[6:7]
	v_fmac_f64_e32 v[6:7], s[18:19], v[18:19]
	v_fmac_f64_e32 v[10:11], s[20:21], v[22:23]
	;; [unrolled: 1-line block ×5, first 2 shown]
	v_add_f64 v[2:3], v[28:29], -v[24:25]
	v_add_f64 v[14:15], v[30:31], -v[26:27]
	v_fmac_f64_e32 v[16:17], s[16:17], v[32:33]
	v_fmac_f64_e32 v[4:5], s[16:17], v[32:33]
	v_add_f64 v[32:33], v[2:3], v[14:15]
	v_add_f64 v[2:3], v[24:25], v[26:27]
	v_fma_f64 v[2:3], -0.5, v[2:3], v[0:1]
	v_add_f64 v[0:1], v[0:1], v[28:29]
	v_add_f64 v[0:1], v[0:1], v[24:25]
	v_fma_f64 v[14:15], s[18:19], v[22:23], v[2:3]
	v_fmac_f64_e32 v[2:3], s[0:1], v[22:23]
	v_add_f64 v[0:1], v[0:1], v[26:27]
	v_fmac_f64_e32 v[14:15], s[20:21], v[18:19]
	v_fmac_f64_e32 v[2:3], s[6:7], v[18:19]
	v_add_f64 v[18:19], v[0:1], v[30:31]
	v_fmac_f64_e32 v[14:15], s[16:17], v[32:33]
	v_fmac_f64_e32 v[2:3], s[16:17], v[32:33]
	ds_write_b128 v112, v[18:21] offset:880
	ds_write_b128 v112, v[2:5] offset:2112
	ds_write_b128 v112, v[6:9] offset:3344
	ds_write_b128 v112, v[10:13] offset:4576
	ds_write_b128 v112, v[14:17] offset:5808
.LBB0_21:
	s_or_b64 exec, exec, s[22:23]
	s_waitcnt lgkmcnt(0)
	; wave barrier
	s_waitcnt lgkmcnt(0)
	s_and_b64 exec, exec, s[4:5]
	s_cbranch_execz .LBB0_23
; %bb.22:
	global_load_dwordx4 v[0:3], v112, s[12:13]
	global_load_dwordx4 v[4:7], v112, s[12:13] offset:560
	global_load_dwordx4 v[8:11], v112, s[12:13] offset:1120
	;; [unrolled: 1-line block ×5, first 2 shown]
	ds_read_b128 v[24:27], v112
	ds_read_b128 v[28:31], v112 offset:560
	ds_read_b128 v[32:35], v112 offset:1120
	;; [unrolled: 1-line block ×5, first 2 shown]
	global_load_dwordx4 v[48:51], v112, s[12:13] offset:3360
	global_load_dwordx4 v[52:55], v112, s[12:13] offset:3920
	v_mov_b32_e32 v113, 0
	v_mad_u64_u32 v[76:77], s[2:3], s8, v114, 0
	v_mad_u64_u32 v[74:75], s[0:1], s10, v116, 0
	s_movk_i32 s3, 0x1000
	v_lshl_add_u64 v[62:63], s[12:13], 0, v[112:113]
	v_mov_b32_e32 v60, v75
	v_mov_b32_e32 v64, v77
	v_add_co_u32_e32 v78, vcc, s3, v62
	v_mad_u64_u32 v[60:61], s[4:5], s11, v116, v[60:61]
	v_mad_u64_u32 v[64:65], s[4:5], s9, v114, v[64:65]
	v_addc_co_u32_e32 v79, vcc, 0, v63, vcc
	ds_read_b128 v[56:59], v112 offset:5600
	v_mov_b32_e32 v75, v60
	v_mov_b32_e32 v77, v64
	global_load_dwordx4 v[60:63], v[78:79], off offset:384
	global_load_dwordx4 v[64:67], v[78:79], off offset:944
	;; [unrolled: 1-line block ×3, first 2 shown]
	v_mov_b32_e32 v72, s14
	v_mov_b32_e32 v73, s15
	v_lshl_add_u64 v[72:73], v[74:75], 4, v[72:73]
	v_mov_b32_e32 v90, 0x230
	v_lshl_add_u64 v[72:73], v[76:77], 4, v[72:73]
	s_mul_i32 s2, s9, 0x230
	v_mad_u64_u32 v[74:75], s[4:5], s8, v90, v[72:73]
	v_add_u32_e32 v75, s2, v75
	s_mov_b32 s0, 0xe6bb82fe
	v_mad_u64_u32 v[76:77], s[4:5], s8, v90, v[74:75]
	s_mov_b32 s1, 0x3f654725
	v_add_u32_e32 v77, s2, v77
	v_mad_u64_u32 v[78:79], s[4:5], s8, v90, v[76:77]
	v_add_u32_e32 v79, s2, v79
	s_waitcnt vmcnt(10) lgkmcnt(6)
	v_mul_f64 v[80:81], v[26:27], v[2:3]
	v_mul_f64 v[2:3], v[24:25], v[2:3]
	s_waitcnt vmcnt(9) lgkmcnt(5)
	v_mul_f64 v[82:83], v[30:31], v[6:7]
	v_mul_f64 v[6:7], v[28:29], v[6:7]
	;; [unrolled: 3-line block ×4, first 2 shown]
	v_fmac_f64_e32 v[80:81], v[24:25], v[0:1]
	v_fma_f64 v[2:3], v[0:1], v[26:27], -v[2:3]
	v_fmac_f64_e32 v[82:83], v[28:29], v[4:5]
	v_fma_f64 v[6:7], v[4:5], v[30:31], -v[6:7]
	;; [unrolled: 2-line block ×4, first 2 shown]
	v_mul_f64 v[0:1], v[80:81], s[0:1]
	v_mul_f64 v[2:3], v[2:3], s[0:1]
	s_waitcnt vmcnt(6) lgkmcnt(2)
	v_mul_f64 v[88:89], v[42:43], v[18:19]
	v_mul_f64 v[4:5], v[82:83], s[0:1]
	;; [unrolled: 1-line block ×7, first 2 shown]
	global_store_dwordx4 v[72:73], v[0:3], off
	global_store_dwordx4 v[74:75], v[4:7], off
	;; [unrolled: 1-line block ×4, first 2 shown]
	v_mul_f64 v[2:3], v[40:41], v[18:19]
	v_fmac_f64_e32 v[88:89], v[40:41], v[16:17]
	v_fma_f64 v[2:3], v[16:17], v[42:43], -v[2:3]
	v_mad_u64_u32 v[8:9], s[4:5], s8, v90, v[78:79]
	v_mul_f64 v[0:1], v[88:89], s[0:1]
	v_mul_f64 v[2:3], v[2:3], s[0:1]
	v_add_u32_e32 v9, s2, v9
	global_store_dwordx4 v[8:9], v[0:3], off
	ds_read_b128 v[4:7], v112 offset:3360
	v_mad_u64_u32 v[12:13], s[4:5], s8, v90, v[8:9]
	s_waitcnt vmcnt(10) lgkmcnt(2)
	v_mul_f64 v[0:1], v[46:47], v[22:23]
	v_mul_f64 v[2:3], v[44:45], v[22:23]
	v_fmac_f64_e32 v[0:1], v[44:45], v[20:21]
	v_fma_f64 v[2:3], v[20:21], v[46:47], -v[2:3]
	v_mul_f64 v[0:1], v[0:1], s[0:1]
	v_mul_f64 v[2:3], v[2:3], s[0:1]
	v_add_u32_e32 v13, s2, v13
	global_store_dwordx4 v[12:13], v[0:3], off
	ds_read_b128 v[0:3], v112 offset:3920
	s_waitcnt vmcnt(10) lgkmcnt(1)
	v_mul_f64 v[8:9], v[6:7], v[50:51]
	v_fmac_f64_e32 v[8:9], v[4:5], v[48:49]
	v_mul_f64 v[4:5], v[4:5], v[50:51]
	v_fma_f64 v[4:5], v[48:49], v[6:7], -v[4:5]
	v_mul_f64 v[10:11], v[4:5], s[0:1]
	s_waitcnt vmcnt(9) lgkmcnt(0)
	v_mul_f64 v[4:5], v[2:3], v[54:55]
	v_fmac_f64_e32 v[4:5], v[0:1], v[52:53]
	v_mul_f64 v[0:1], v[0:1], v[54:55]
	v_mad_u64_u32 v[12:13], s[4:5], s8, v90, v[12:13]
	v_fma_f64 v[0:1], v[52:53], v[2:3], -v[0:1]
	v_mul_f64 v[8:9], v[8:9], s[0:1]
	v_add_u32_e32 v13, s2, v13
	v_mul_f64 v[6:7], v[0:1], s[0:1]
	ds_read_b128 v[0:3], v112 offset:4480
	global_store_dwordx4 v[12:13], v[8:11], off
	v_mad_u64_u32 v[12:13], s[4:5], s8, v90, v[12:13]
	v_mul_f64 v[4:5], v[4:5], s[0:1]
	v_add_u32_e32 v13, s2, v13
	global_store_dwordx4 v[12:13], v[4:7], off
	ds_read_b128 v[4:7], v112 offset:5040
	s_waitcnt vmcnt(10) lgkmcnt(1)
	v_mul_f64 v[8:9], v[2:3], v[62:63]
	v_fmac_f64_e32 v[8:9], v[0:1], v[60:61]
	v_mul_f64 v[0:1], v[0:1], v[62:63]
	v_fma_f64 v[0:1], v[60:61], v[2:3], -v[0:1]
	v_mad_u64_u32 v[12:13], s[4:5], s8, v90, v[12:13]
	v_mul_f64 v[10:11], v[0:1], s[0:1]
	v_add_u32_e32 v13, s2, v13
	s_waitcnt vmcnt(9) lgkmcnt(0)
	v_mul_f64 v[0:1], v[6:7], v[66:67]
	v_mul_f64 v[2:3], v[4:5], v[66:67]
	v_fmac_f64_e32 v[0:1], v[4:5], v[64:65]
	v_fma_f64 v[2:3], v[64:65], v[6:7], -v[2:3]
	v_mad_u64_u32 v[4:5], s[4:5], s8, v90, v[12:13]
	v_mul_f64 v[8:9], v[8:9], s[0:1]
	v_mul_f64 v[0:1], v[0:1], s[0:1]
	;; [unrolled: 1-line block ×3, first 2 shown]
	v_add_u32_e32 v5, s2, v5
	global_store_dwordx4 v[12:13], v[8:11], off
	global_store_dwordx4 v[4:5], v[0:3], off
	s_waitcnt vmcnt(10)
	s_nop 0
	v_mul_f64 v[0:1], v[58:59], v[70:71]
	v_mul_f64 v[2:3], v[56:57], v[70:71]
	v_fmac_f64_e32 v[0:1], v[56:57], v[68:69]
	v_fma_f64 v[2:3], v[68:69], v[58:59], -v[2:3]
	v_mul_f64 v[0:1], v[0:1], s[0:1]
	v_mul_f64 v[2:3], v[2:3], s[0:1]
	v_mad_u64_u32 v[4:5], s[0:1], s8, v90, v[4:5]
	v_add_u32_e32 v5, s2, v5
	global_store_dwordx4 v[4:5], v[0:3], off
.LBB0_23:
	s_endpgm
	.section	.rodata,"a",@progbits
	.p2align	6, 0x0
	.amdhsa_kernel bluestein_single_fwd_len385_dim1_dp_op_CI_CI
		.amdhsa_group_segment_fixed_size 6160
		.amdhsa_private_segment_fixed_size 0
		.amdhsa_kernarg_size 104
		.amdhsa_user_sgpr_count 2
		.amdhsa_user_sgpr_dispatch_ptr 0
		.amdhsa_user_sgpr_queue_ptr 0
		.amdhsa_user_sgpr_kernarg_segment_ptr 1
		.amdhsa_user_sgpr_dispatch_id 0
		.amdhsa_user_sgpr_kernarg_preload_length 0
		.amdhsa_user_sgpr_kernarg_preload_offset 0
		.amdhsa_user_sgpr_private_segment_size 0
		.amdhsa_uses_dynamic_stack 0
		.amdhsa_enable_private_segment 0
		.amdhsa_system_sgpr_workgroup_id_x 1
		.amdhsa_system_sgpr_workgroup_id_y 0
		.amdhsa_system_sgpr_workgroup_id_z 0
		.amdhsa_system_sgpr_workgroup_info 0
		.amdhsa_system_vgpr_workitem_id 0
		.amdhsa_next_free_vgpr 306
		.amdhsa_next_free_sgpr 44
		.amdhsa_accum_offset 256
		.amdhsa_reserve_vcc 1
		.amdhsa_float_round_mode_32 0
		.amdhsa_float_round_mode_16_64 0
		.amdhsa_float_denorm_mode_32 3
		.amdhsa_float_denorm_mode_16_64 3
		.amdhsa_dx10_clamp 1
		.amdhsa_ieee_mode 1
		.amdhsa_fp16_overflow 0
		.amdhsa_tg_split 0
		.amdhsa_exception_fp_ieee_invalid_op 0
		.amdhsa_exception_fp_denorm_src 0
		.amdhsa_exception_fp_ieee_div_zero 0
		.amdhsa_exception_fp_ieee_overflow 0
		.amdhsa_exception_fp_ieee_underflow 0
		.amdhsa_exception_fp_ieee_inexact 0
		.amdhsa_exception_int_div_zero 0
	.end_amdhsa_kernel
	.text
.Lfunc_end0:
	.size	bluestein_single_fwd_len385_dim1_dp_op_CI_CI, .Lfunc_end0-bluestein_single_fwd_len385_dim1_dp_op_CI_CI
                                        ; -- End function
	.section	.AMDGPU.csdata,"",@progbits
; Kernel info:
; codeLenInByte = 14404
; NumSgprs: 50
; NumVgprs: 256
; NumAgprs: 50
; TotalNumVgprs: 306
; ScratchSize: 0
; MemoryBound: 0
; FloatMode: 240
; IeeeMode: 1
; LDSByteSize: 6160 bytes/workgroup (compile time only)
; SGPRBlocks: 6
; VGPRBlocks: 38
; NumSGPRsForWavesPerEU: 50
; NumVGPRsForWavesPerEU: 306
; AccumOffset: 256
; Occupancy: 1
; WaveLimiterHint : 1
; COMPUTE_PGM_RSRC2:SCRATCH_EN: 0
; COMPUTE_PGM_RSRC2:USER_SGPR: 2
; COMPUTE_PGM_RSRC2:TRAP_HANDLER: 0
; COMPUTE_PGM_RSRC2:TGID_X_EN: 1
; COMPUTE_PGM_RSRC2:TGID_Y_EN: 0
; COMPUTE_PGM_RSRC2:TGID_Z_EN: 0
; COMPUTE_PGM_RSRC2:TIDIG_COMP_CNT: 0
; COMPUTE_PGM_RSRC3_GFX90A:ACCUM_OFFSET: 63
; COMPUTE_PGM_RSRC3_GFX90A:TG_SPLIT: 0
	.text
	.p2alignl 6, 3212836864
	.fill 256, 4, 3212836864
	.type	__hip_cuid_2a7a47444dabbdd0,@object ; @__hip_cuid_2a7a47444dabbdd0
	.section	.bss,"aw",@nobits
	.globl	__hip_cuid_2a7a47444dabbdd0
__hip_cuid_2a7a47444dabbdd0:
	.byte	0                               ; 0x0
	.size	__hip_cuid_2a7a47444dabbdd0, 1

	.ident	"AMD clang version 19.0.0git (https://github.com/RadeonOpenCompute/llvm-project roc-6.4.0 25133 c7fe45cf4b819c5991fe208aaa96edf142730f1d)"
	.section	".note.GNU-stack","",@progbits
	.addrsig
	.addrsig_sym __hip_cuid_2a7a47444dabbdd0
	.amdgpu_metadata
---
amdhsa.kernels:
  - .agpr_count:     50
    .args:
      - .actual_access:  read_only
        .address_space:  global
        .offset:         0
        .size:           8
        .value_kind:     global_buffer
      - .actual_access:  read_only
        .address_space:  global
        .offset:         8
        .size:           8
        .value_kind:     global_buffer
      - .actual_access:  read_only
        .address_space:  global
        .offset:         16
        .size:           8
        .value_kind:     global_buffer
      - .actual_access:  read_only
        .address_space:  global
        .offset:         24
        .size:           8
        .value_kind:     global_buffer
      - .actual_access:  read_only
        .address_space:  global
        .offset:         32
        .size:           8
        .value_kind:     global_buffer
      - .offset:         40
        .size:           8
        .value_kind:     by_value
      - .address_space:  global
        .offset:         48
        .size:           8
        .value_kind:     global_buffer
      - .address_space:  global
        .offset:         56
        .size:           8
        .value_kind:     global_buffer
      - .address_space:  global
        .offset:         64
        .size:           8
        .value_kind:     global_buffer
      - .address_space:  global
        .offset:         72
        .size:           8
        .value_kind:     global_buffer
      - .offset:         80
        .size:           4
        .value_kind:     by_value
      - .address_space:  global
        .offset:         88
        .size:           8
        .value_kind:     global_buffer
      - .address_space:  global
        .offset:         96
        .size:           8
        .value_kind:     global_buffer
    .group_segment_fixed_size: 6160
    .kernarg_segment_align: 8
    .kernarg_segment_size: 104
    .language:       OpenCL C
    .language_version:
      - 2
      - 0
    .max_flat_workgroup_size: 55
    .name:           bluestein_single_fwd_len385_dim1_dp_op_CI_CI
    .private_segment_fixed_size: 0
    .sgpr_count:     50
    .sgpr_spill_count: 0
    .symbol:         bluestein_single_fwd_len385_dim1_dp_op_CI_CI.kd
    .uniform_work_group_size: 1
    .uses_dynamic_stack: false
    .vgpr_count:     306
    .vgpr_spill_count: 0
    .wavefront_size: 64
amdhsa.target:   amdgcn-amd-amdhsa--gfx950
amdhsa.version:
  - 1
  - 2
...

	.end_amdgpu_metadata
